;; amdgpu-corpus repo=ROCm/rocFFT kind=compiled arch=gfx906 opt=O3
	.text
	.amdgcn_target "amdgcn-amd-amdhsa--gfx906"
	.amdhsa_code_object_version 6
	.protected	fft_rtc_fwd_len3840_factors_10_6_2_2_2_2_2_2_wgs_128_tpt_128_halfLds_dp_ip_CI_sbrr_dirReg ; -- Begin function fft_rtc_fwd_len3840_factors_10_6_2_2_2_2_2_2_wgs_128_tpt_128_halfLds_dp_ip_CI_sbrr_dirReg
	.globl	fft_rtc_fwd_len3840_factors_10_6_2_2_2_2_2_2_wgs_128_tpt_128_halfLds_dp_ip_CI_sbrr_dirReg
	.p2align	8
	.type	fft_rtc_fwd_len3840_factors_10_6_2_2_2_2_2_2_wgs_128_tpt_128_halfLds_dp_ip_CI_sbrr_dirReg,@function
fft_rtc_fwd_len3840_factors_10_6_2_2_2_2_2_2_wgs_128_tpt_128_halfLds_dp_ip_CI_sbrr_dirReg: ; @fft_rtc_fwd_len3840_factors_10_6_2_2_2_2_2_2_wgs_128_tpt_128_halfLds_dp_ip_CI_sbrr_dirReg
; %bb.0:
	s_load_dwordx2 s[14:15], s[4:5], 0x18
	s_load_dwordx4 s[8:11], s[4:5], 0x0
	s_load_dwordx2 s[12:13], s[4:5], 0x50
	v_mov_b32_e32 v3, 0
	v_mov_b32_e32 v1, 0
	s_waitcnt lgkmcnt(0)
	s_load_dwordx2 s[2:3], s[14:15], 0x0
	v_cmp_lt_u64_e64 s[0:1], s[10:11], 2
	v_mov_b32_e32 v5, s6
	v_mov_b32_e32 v6, v3
	s_and_b64 vcc, exec, s[0:1]
	v_mov_b32_e32 v2, 0
	s_cbranch_vccnz .LBB0_8
; %bb.1:
	s_load_dwordx2 s[0:1], s[4:5], 0x10
	s_add_u32 s6, s14, 8
	s_addc_u32 s7, s15, 0
	v_mov_b32_e32 v1, 0
	v_mov_b32_e32 v2, 0
	s_waitcnt lgkmcnt(0)
	s_add_u32 s16, s0, 8
	s_addc_u32 s17, s1, 0
	s_mov_b64 s[18:19], 1
.LBB0_2:                                ; =>This Inner Loop Header: Depth=1
	s_load_dwordx2 s[20:21], s[16:17], 0x0
                                        ; implicit-def: $vgpr7_vgpr8
	s_waitcnt lgkmcnt(0)
	v_or_b32_e32 v4, s21, v6
	v_cmp_ne_u64_e32 vcc, 0, v[3:4]
	s_and_saveexec_b64 s[0:1], vcc
	s_xor_b64 s[22:23], exec, s[0:1]
	s_cbranch_execz .LBB0_4
; %bb.3:                                ;   in Loop: Header=BB0_2 Depth=1
	v_cvt_f32_u32_e32 v4, s20
	v_cvt_f32_u32_e32 v7, s21
	s_sub_u32 s0, 0, s20
	s_subb_u32 s1, 0, s21
	v_mac_f32_e32 v4, 0x4f800000, v7
	v_rcp_f32_e32 v4, v4
	v_mul_f32_e32 v4, 0x5f7ffffc, v4
	v_mul_f32_e32 v7, 0x2f800000, v4
	v_trunc_f32_e32 v7, v7
	v_mac_f32_e32 v4, 0xcf800000, v7
	v_cvt_u32_f32_e32 v7, v7
	v_cvt_u32_f32_e32 v4, v4
	v_mul_lo_u32 v8, s0, v7
	v_mul_hi_u32 v9, s0, v4
	v_mul_lo_u32 v11, s1, v4
	v_mul_lo_u32 v10, s0, v4
	v_add_u32_e32 v8, v9, v8
	v_add_u32_e32 v8, v8, v11
	v_mul_hi_u32 v9, v4, v10
	v_mul_lo_u32 v11, v4, v8
	v_mul_hi_u32 v13, v4, v8
	v_mul_hi_u32 v12, v7, v10
	v_mul_lo_u32 v10, v7, v10
	v_mul_hi_u32 v14, v7, v8
	v_add_co_u32_e32 v9, vcc, v9, v11
	v_addc_co_u32_e32 v11, vcc, 0, v13, vcc
	v_mul_lo_u32 v8, v7, v8
	v_add_co_u32_e32 v9, vcc, v9, v10
	v_addc_co_u32_e32 v9, vcc, v11, v12, vcc
	v_addc_co_u32_e32 v10, vcc, 0, v14, vcc
	v_add_co_u32_e32 v8, vcc, v9, v8
	v_addc_co_u32_e32 v9, vcc, 0, v10, vcc
	v_add_co_u32_e32 v4, vcc, v4, v8
	v_addc_co_u32_e32 v7, vcc, v7, v9, vcc
	v_mul_lo_u32 v8, s0, v7
	v_mul_hi_u32 v9, s0, v4
	v_mul_lo_u32 v10, s1, v4
	v_mul_lo_u32 v11, s0, v4
	v_add_u32_e32 v8, v9, v8
	v_add_u32_e32 v8, v8, v10
	v_mul_lo_u32 v12, v4, v8
	v_mul_hi_u32 v13, v4, v11
	v_mul_hi_u32 v14, v4, v8
	;; [unrolled: 1-line block ×3, first 2 shown]
	v_mul_lo_u32 v11, v7, v11
	v_mul_hi_u32 v9, v7, v8
	v_add_co_u32_e32 v12, vcc, v13, v12
	v_addc_co_u32_e32 v13, vcc, 0, v14, vcc
	v_mul_lo_u32 v8, v7, v8
	v_add_co_u32_e32 v11, vcc, v12, v11
	v_addc_co_u32_e32 v10, vcc, v13, v10, vcc
	v_addc_co_u32_e32 v9, vcc, 0, v9, vcc
	v_add_co_u32_e32 v8, vcc, v10, v8
	v_addc_co_u32_e32 v9, vcc, 0, v9, vcc
	v_add_co_u32_e32 v4, vcc, v4, v8
	v_addc_co_u32_e32 v9, vcc, v7, v9, vcc
	v_mad_u64_u32 v[7:8], s[0:1], v5, v9, 0
	v_mul_hi_u32 v10, v5, v4
	v_add_co_u32_e32 v11, vcc, v10, v7
	v_addc_co_u32_e32 v12, vcc, 0, v8, vcc
	v_mad_u64_u32 v[7:8], s[0:1], v6, v4, 0
	v_mad_u64_u32 v[9:10], s[0:1], v6, v9, 0
	v_add_co_u32_e32 v4, vcc, v11, v7
	v_addc_co_u32_e32 v4, vcc, v12, v8, vcc
	v_addc_co_u32_e32 v7, vcc, 0, v10, vcc
	v_add_co_u32_e32 v4, vcc, v4, v9
	v_addc_co_u32_e32 v9, vcc, 0, v7, vcc
	v_mul_lo_u32 v10, s21, v4
	v_mul_lo_u32 v11, s20, v9
	v_mad_u64_u32 v[7:8], s[0:1], s20, v4, 0
	v_add3_u32 v8, v8, v11, v10
	v_sub_u32_e32 v10, v6, v8
	v_mov_b32_e32 v11, s21
	v_sub_co_u32_e32 v7, vcc, v5, v7
	v_subb_co_u32_e64 v10, s[0:1], v10, v11, vcc
	v_subrev_co_u32_e64 v11, s[0:1], s20, v7
	v_subbrev_co_u32_e64 v10, s[0:1], 0, v10, s[0:1]
	v_cmp_le_u32_e64 s[0:1], s21, v10
	v_cndmask_b32_e64 v12, 0, -1, s[0:1]
	v_cmp_le_u32_e64 s[0:1], s20, v11
	v_cndmask_b32_e64 v11, 0, -1, s[0:1]
	v_cmp_eq_u32_e64 s[0:1], s21, v10
	v_cndmask_b32_e64 v10, v12, v11, s[0:1]
	v_add_co_u32_e64 v11, s[0:1], 2, v4
	v_addc_co_u32_e64 v12, s[0:1], 0, v9, s[0:1]
	v_add_co_u32_e64 v13, s[0:1], 1, v4
	v_addc_co_u32_e64 v14, s[0:1], 0, v9, s[0:1]
	v_subb_co_u32_e32 v8, vcc, v6, v8, vcc
	v_cmp_ne_u32_e64 s[0:1], 0, v10
	v_cmp_le_u32_e32 vcc, s21, v8
	v_cndmask_b32_e64 v10, v14, v12, s[0:1]
	v_cndmask_b32_e64 v12, 0, -1, vcc
	v_cmp_le_u32_e32 vcc, s20, v7
	v_cndmask_b32_e64 v7, 0, -1, vcc
	v_cmp_eq_u32_e32 vcc, s21, v8
	v_cndmask_b32_e32 v7, v12, v7, vcc
	v_cmp_ne_u32_e32 vcc, 0, v7
	v_cndmask_b32_e64 v7, v13, v11, s[0:1]
	v_cndmask_b32_e32 v8, v9, v10, vcc
	v_cndmask_b32_e32 v7, v4, v7, vcc
.LBB0_4:                                ;   in Loop: Header=BB0_2 Depth=1
	s_andn2_saveexec_b64 s[0:1], s[22:23]
	s_cbranch_execz .LBB0_6
; %bb.5:                                ;   in Loop: Header=BB0_2 Depth=1
	v_cvt_f32_u32_e32 v4, s20
	s_sub_i32 s22, 0, s20
	v_rcp_iflag_f32_e32 v4, v4
	v_mul_f32_e32 v4, 0x4f7ffffe, v4
	v_cvt_u32_f32_e32 v4, v4
	v_mul_lo_u32 v7, s22, v4
	v_mul_hi_u32 v7, v4, v7
	v_add_u32_e32 v4, v4, v7
	v_mul_hi_u32 v4, v5, v4
	v_mul_lo_u32 v7, v4, s20
	v_add_u32_e32 v8, 1, v4
	v_sub_u32_e32 v7, v5, v7
	v_subrev_u32_e32 v9, s20, v7
	v_cmp_le_u32_e32 vcc, s20, v7
	v_cndmask_b32_e32 v7, v7, v9, vcc
	v_cndmask_b32_e32 v4, v4, v8, vcc
	v_add_u32_e32 v8, 1, v4
	v_cmp_le_u32_e32 vcc, s20, v7
	v_cndmask_b32_e32 v7, v4, v8, vcc
	v_mov_b32_e32 v8, v3
.LBB0_6:                                ;   in Loop: Header=BB0_2 Depth=1
	s_or_b64 exec, exec, s[0:1]
	v_mul_lo_u32 v4, v8, s20
	v_mul_lo_u32 v11, v7, s21
	v_mad_u64_u32 v[9:10], s[0:1], v7, s20, 0
	s_load_dwordx2 s[0:1], s[6:7], 0x0
	s_add_u32 s18, s18, 1
	v_add3_u32 v4, v10, v11, v4
	v_sub_co_u32_e32 v5, vcc, v5, v9
	v_subb_co_u32_e32 v4, vcc, v6, v4, vcc
	s_waitcnt lgkmcnt(0)
	v_mul_lo_u32 v4, s0, v4
	v_mul_lo_u32 v6, s1, v5
	v_mad_u64_u32 v[1:2], s[0:1], s0, v5, v[1:2]
	s_addc_u32 s19, s19, 0
	s_add_u32 s6, s6, 8
	v_add3_u32 v2, v6, v2, v4
	v_mov_b32_e32 v4, s10
	v_mov_b32_e32 v5, s11
	s_addc_u32 s7, s7, 0
	v_cmp_ge_u64_e32 vcc, s[18:19], v[4:5]
	s_add_u32 s16, s16, 8
	s_addc_u32 s17, s17, 0
	s_cbranch_vccnz .LBB0_9
; %bb.7:                                ;   in Loop: Header=BB0_2 Depth=1
	v_mov_b32_e32 v5, v7
	v_mov_b32_e32 v6, v8
	s_branch .LBB0_2
.LBB0_8:
	v_mov_b32_e32 v8, v6
	v_mov_b32_e32 v7, v5
.LBB0_9:
	s_lshl_b64 s[0:1], s[10:11], 3
	s_add_u32 s0, s14, s0
	s_addc_u32 s1, s15, s1
	s_load_dwordx2 s[6:7], s[0:1], 0x0
	s_load_dwordx2 s[10:11], s[4:5], 0x20
                                        ; implicit-def: $vgpr130
                                        ; implicit-def: $vgpr135
                                        ; implicit-def: $vgpr145
                                        ; implicit-def: $vgpr129
                                        ; implicit-def: $vgpr140
                                        ; implicit-def: $vgpr143
                                        ; implicit-def: $vgpr137
                                        ; implicit-def: $vgpr127
                                        ; implicit-def: $vgpr132
                                        ; implicit-def: $vgpr124
                                        ; implicit-def: $vgpr139
                                        ; implicit-def: $vgpr125
                                        ; implicit-def: $vgpr133
                                        ; implicit-def: $vgpr142
	s_waitcnt lgkmcnt(0)
	v_mul_lo_u32 v4, s6, v8
	v_mul_lo_u32 v5, s7, v7
	v_mad_u64_u32 v[2:3], s[0:1], s6, v7, v[1:2]
	v_cmp_gt_u64_e32 vcc, s[10:11], v[7:8]
	v_cmp_le_u64_e64 s[0:1], s[10:11], v[7:8]
	v_add3_u32 v3, v5, v3, v4
	s_and_saveexec_b64 s[4:5], s[0:1]
	s_xor_b64 s[0:1], exec, s[4:5]
	s_cbranch_execz .LBB0_11
; %bb.10:
	v_mov_b32_e32 v1, 0
	v_or_b32_e32 v130, 0x80, v0
	v_or_b32_e32 v135, 0x100, v0
	;; [unrolled: 1-line block ×13, first 2 shown]
	v_mov_b32_e32 v131, v1
	v_mov_b32_e32 v136, v1
	v_mov_b32_e32 v141, v1
	v_mov_b32_e32 v144, v1
	v_mov_b32_e32 v146, v1
	v_mov_b32_e32 v138, v1
	v_or_b32_e32 v142, 0x700, v0
.LBB0_11:
	s_or_saveexec_b64 s[4:5], s[0:1]
	v_lshlrev_b64 v[122:123], 4, v[2:3]
                                        ; implicit-def: $vgpr4_vgpr5
                                        ; implicit-def: $vgpr32_vgpr33
                                        ; implicit-def: $vgpr8_vgpr9
                                        ; implicit-def: $vgpr28_vgpr29
                                        ; implicit-def: $vgpr16_vgpr17
                                        ; implicit-def: $vgpr36_vgpr37
                                        ; implicit-def: $vgpr12_vgpr13
                                        ; implicit-def: $vgpr24_vgpr25
                                        ; implicit-def: $vgpr20_vgpr21
                                        ; implicit-def: $vgpr40_vgpr41
                                        ; implicit-def: $vgpr44_vgpr45
                                        ; implicit-def: $vgpr104_vgpr105
                                        ; implicit-def: $vgpr48_vgpr49
                                        ; implicit-def: $vgpr92_vgpr93
                                        ; implicit-def: $vgpr56_vgpr57
                                        ; implicit-def: $vgpr100_vgpr101
                                        ; implicit-def: $vgpr60_vgpr61
                                        ; implicit-def: $vgpr96_vgpr97
                                        ; implicit-def: $vgpr52_vgpr53
                                        ; implicit-def: $vgpr108_vgpr109
                                        ; implicit-def: $vgpr64_vgpr65
                                        ; implicit-def: $vgpr88_vgpr89
                                        ; implicit-def: $vgpr68_vgpr69
                                        ; implicit-def: $vgpr84_vgpr85
                                        ; implicit-def: $vgpr76_vgpr77
                                        ; implicit-def: $vgpr116_vgpr117
                                        ; implicit-def: $vgpr72_vgpr73
                                        ; implicit-def: $vgpr112_vgpr113
                                        ; implicit-def: $vgpr80_vgpr81
                                        ; implicit-def: $vgpr120_vgpr121
	s_xor_b64 exec, exec, s[4:5]
	s_cbranch_execz .LBB0_13
; %bb.12:
	v_mad_u64_u32 v[1:2], s[0:1], s2, v0, 0
	v_or_b32_e32 v140, 0x180, v0
	v_mov_b32_e32 v5, s13
	v_mad_u64_u32 v[2:3], s[0:1], s3, v0, v[2:3]
	v_mad_u64_u32 v[3:4], s[0:1], s2, v140, 0
	v_add_co_u32_e64 v21, s[0:1], s12, v122
	v_addc_co_u32_e64 v22, s[0:1], v5, v123, s[0:1]
	v_mad_u64_u32 v[4:5], s[0:1], s3, v140, v[4:5]
	v_or_b32_e32 v137, 0x300, v0
	v_mad_u64_u32 v[5:6], s[0:1], s2, v137, 0
	v_lshlrev_b64 v[1:2], 4, v[1:2]
	v_or_b32_e32 v124, 0x480, v0
	v_add_co_u32_e64 v1, s[0:1], v21, v1
	v_addc_co_u32_e64 v2, s[0:1], v22, v2, s[0:1]
	v_mad_u64_u32 v[6:7], s[0:1], s3, v137, v[6:7]
	v_mad_u64_u32 v[7:8], s[0:1], s2, v124, 0
	v_lshlrev_b64 v[3:4], 4, v[3:4]
	v_or_b32_e32 v125, 0x600, v0
	v_add_co_u32_e64 v3, s[0:1], v21, v3
	v_addc_co_u32_e64 v4, s[0:1], v22, v4, s[0:1]
	v_mad_u64_u32 v[8:9], s[0:1], s3, v124, v[8:9]
	;; [unrolled: 6-line block ×8, first 2 shown]
	v_mad_u64_u32 v[24:25], s[0:1], s2, v130, 0
	v_lshlrev_b64 v[17:18], 4, v[17:18]
	v_mov_b32_e32 v20, v23
	v_add_co_u32_e64 v17, s[0:1], v21, v17
	v_mov_b32_e32 v23, v25
	v_addc_co_u32_e64 v18, s[0:1], v22, v18, s[0:1]
	v_mad_u64_u32 v[25:26], s[0:1], s3, v130, v[23:24]
	v_or_b32_e32 v143, 0x200, v0
	v_mad_u64_u32 v[26:27], s[0:1], s2, v143, 0
	v_lshlrev_b64 v[19:20], 4, v[19:20]
	v_lshlrev_b64 v[23:24], 4, v[24:25]
	v_add_co_u32_e64 v19, s[0:1], v21, v19
	v_mov_b32_e32 v25, v27
	v_addc_co_u32_e64 v20, s[0:1], v22, v20, s[0:1]
	v_mad_u64_u32 v[27:28], s[0:1], s3, v143, v[25:26]
	v_or_b32_e32 v127, 0x380, v0
	v_mad_u64_u32 v[28:29], s[0:1], s2, v127, 0
	v_add_co_u32_e64 v23, s[0:1], v21, v23
	v_lshlrev_b64 v[25:26], 4, v[26:27]
	v_mov_b32_e32 v27, v29
	v_addc_co_u32_e64 v24, s[0:1], v22, v24, s[0:1]
	v_mad_u64_u32 v[29:30], s[0:1], s3, v127, v[27:28]
	v_or_b32_e32 v129, 0x500, v0
	v_mad_u64_u32 v[30:31], s[0:1], s2, v129, 0
	v_add_co_u32_e64 v25, s[0:1], v21, v25
	v_lshlrev_b64 v[27:28], 4, v[28:29]
	;; [unrolled: 7-line block ×8, first 2 shown]
	v_mov_b32_e32 v41, v43
	v_addc_co_u32_e64 v38, s[0:1], v22, v38, s[0:1]
	v_mad_u64_u32 v[43:44], s[0:1], s3, v44, v[41:42]
	v_or_b32_e32 v135, 0x100, v0
	v_mad_u64_u32 v[44:45], s[0:1], s2, v135, 0
	v_add_co_u32_e64 v146, s[0:1], v21, v39
	v_mov_b32_e32 v41, v45
	v_addc_co_u32_e64 v147, s[0:1], v22, v40, s[0:1]
	v_lshlrev_b64 v[39:40], 4, v[42:43]
	v_mad_u64_u32 v[41:42], s[0:1], s3, v135, v[41:42]
	v_or_b32_e32 v145, 0x280, v0
	v_mad_u64_u32 v[42:43], s[0:1], s2, v145, 0
	v_add_co_u32_e64 v148, s[0:1], v21, v39
	v_mov_b32_e32 v45, v41
	v_mov_b32_e32 v41, v43
	v_addc_co_u32_e64 v149, s[0:1], v22, v40, s[0:1]
	v_lshlrev_b64 v[39:40], 4, v[44:45]
	v_mad_u64_u32 v[43:44], s[0:1], s3, v145, v[41:42]
	v_or_b32_e32 v132, 0x400, v0
	v_mad_u64_u32 v[44:45], s[0:1], s2, v132, 0
	v_add_co_u32_e64 v150, s[0:1], v21, v39
	v_mov_b32_e32 v41, v45
	v_addc_co_u32_e64 v151, s[0:1], v22, v40, s[0:1]
	v_lshlrev_b64 v[39:40], 4, v[42:43]
	v_mad_u64_u32 v[41:42], s[0:1], s3, v132, v[41:42]
	v_or_b32_e32 v139, 0x580, v0
	v_mad_u64_u32 v[42:43], s[0:1], s2, v139, 0
	v_add_co_u32_e64 v152, s[0:1], v21, v39
	v_mov_b32_e32 v45, v41
	v_mov_b32_e32 v41, v43
	v_addc_co_u32_e64 v153, s[0:1], v22, v40, s[0:1]
	v_lshlrev_b64 v[39:40], 4, v[44:45]
	;; [unrolled: 15-line block ×5, first 2 shown]
	v_mad_u64_u32 v[43:44], s[0:1], s3, v46, v[41:42]
	v_add_co_u32_e64 v166, s[0:1], v21, v39
	v_addc_co_u32_e64 v167, s[0:1], v22, v40, s[0:1]
	v_lshlrev_b64 v[39:40], 4, v[42:43]
	v_add_co_u32_e64 v168, s[0:1], v21, v39
	v_addc_co_u32_e64 v169, s[0:1], v22, v40, s[0:1]
	global_load_dwordx4 v[118:121], v[1:2], off
	global_load_dwordx4 v[78:81], v[3:4], off
	;; [unrolled: 1-line block ×12, first 2 shown]
                                        ; kill: killed $vgpr19 killed $vgpr20
                                        ; kill: killed $vgpr23 killed $vgpr24
                                        ; kill: killed $vgpr25 killed $vgpr26
                                        ; kill: killed $vgpr9 killed $vgpr10
                                        ; kill: killed $vgpr11 killed $vgpr12
                                        ; kill: killed $vgpr13 killed $vgpr14
                                        ; kill: killed $vgpr7 killed $vgpr8
                                        ; kill: killed $vgpr1 killed $vgpr2
                                        ; kill: killed $vgpr15 killed $vgpr16
                                        ; kill: killed $vgpr3 killed $vgpr4
                                        ; kill: killed $vgpr17 killed $vgpr18
                                        ; kill: killed $vgpr5 killed $vgpr6
	global_load_dwordx4 v[94:97], v[27:28], off
	global_load_dwordx4 v[58:61], v[29:30], off
	;; [unrolled: 1-line block ×6, first 2 shown]
                                        ; kill: killed $vgpr31 killed $vgpr32
                                        ; kill: killed $vgpr33 killed $vgpr34
                                        ; kill: killed $vgpr35 killed $vgpr36
                                        ; kill: killed $vgpr29 killed $vgpr30
                                        ; kill: killed $vgpr37 killed $vgpr38
                                        ; kill: killed $vgpr27 killed $vgpr28
	global_load_dwordx4 v[102:105], v[146:147], off
	global_load_dwordx4 v[42:45], v[148:149], off
	s_nop 0
	global_load_dwordx4 v[38:41], v[150:151], off
                                        ; kill: killed $vgpr148 killed $vgpr149
                                        ; kill: killed $vgpr150 killed $vgpr151
                                        ; kill: killed $vgpr146 killed $vgpr147
	global_load_dwordx4 v[18:21], v[152:153], off
	global_load_dwordx4 v[22:25], v[154:155], off
                                        ; kill: killed $vgpr152 killed $vgpr153
                                        ; kill: killed $vgpr154 killed $vgpr155
	global_load_dwordx4 v[10:13], v[156:157], off
	global_load_dwordx4 v[34:37], v[158:159], off
	;; [unrolled: 1-line block ×7, first 2 shown]
	v_mov_b32_e32 v1, 0
	v_mov_b32_e32 v141, v1
	;; [unrolled: 1-line block ×7, first 2 shown]
.LBB0_13:
	s_or_b64 exec, exec, s[4:5]
	s_waitcnt vmcnt(23)
	v_add_f64 v[147:148], v[82:83], v[114:115]
	v_add_f64 v[149:150], v[110:111], v[118:119]
	s_waitcnt vmcnt(21)
	v_add_f64 v[151:152], v[112:113], -v[88:89]
	v_add_f64 v[159:160], v[86:87], v[110:111]
	s_mov_b32 s0, 0x134454ff
	s_mov_b32 s1, 0x3fee6f0e
	;; [unrolled: 1-line block ×4, first 2 shown]
	v_fma_f64 v[147:148], v[147:148], -0.5, v[118:119]
	v_add_f64 v[149:150], v[114:115], v[149:150]
	v_add_f64 v[153:154], v[116:117], -v[84:85]
	v_add_f64 v[155:156], v[110:111], -v[114:115]
	;; [unrolled: 1-line block ×3, first 2 shown]
	v_fma_f64 v[118:119], v[159:160], -0.5, v[118:119]
	s_mov_b32 s4, 0x4755a5e
	s_mov_b32 s5, 0x3fe2cf23
	v_fma_f64 v[161:162], v[151:152], s[0:1], v[147:148]
	v_add_f64 v[149:150], v[82:83], v[149:150]
	v_fma_f64 v[147:148], v[151:152], s[10:11], v[147:148]
	s_mov_b32 s15, 0xbfe2cf23
	s_mov_b32 s14, s4
	v_add_f64 v[163:164], v[114:115], -v[110:111]
	v_add_f64 v[159:160], v[82:83], -v[86:87]
	v_add_f64 v[165:166], v[84:85], v[116:117]
	v_add_f64 v[155:156], v[157:158], v[155:156]
	v_fma_f64 v[157:158], v[153:154], s[4:5], v[161:162]
	v_fma_f64 v[161:162], v[153:154], s[10:11], v[118:119]
	v_add_f64 v[167:168], v[112:113], v[120:121]
	v_add_f64 v[110:111], v[110:111], -v[86:87]
	v_add_f64 v[149:150], v[86:87], v[149:150]
	v_fma_f64 v[86:87], v[153:154], s[14:15], v[147:148]
	v_fma_f64 v[118:119], v[153:154], s[0:1], v[118:119]
	s_mov_b32 s6, 0x372fe950
	s_mov_b32 s7, 0x3fd3c6ef
	v_fma_f64 v[165:166], v[165:166], -0.5, v[120:121]
	v_fma_f64 v[157:158], v[155:156], s[6:7], v[157:158]
	v_fma_f64 v[147:148], v[151:152], s[4:5], v[161:162]
	v_add_f64 v[159:160], v[159:160], v[163:164]
	v_add_f64 v[153:154], v[116:117], v[167:168]
	v_add_f64 v[82:83], v[114:115], -v[82:83]
	v_add_f64 v[114:115], v[112:113], -v[116:117]
	;; [unrolled: 1-line block ×3, first 2 shown]
	v_fma_f64 v[155:156], v[155:156], s[6:7], v[86:87]
	v_add_f64 v[86:87], v[88:89], v[112:113]
	v_fma_f64 v[118:119], v[151:152], s[14:15], v[118:119]
	v_fma_f64 v[161:162], v[110:111], s[10:11], v[165:166]
	v_add_f64 v[151:152], v[84:85], v[153:154]
	v_fma_f64 v[147:148], v[159:160], s[6:7], v[147:148]
	v_add_f64 v[153:154], v[66:67], v[74:75]
	v_add_f64 v[114:115], v[163:164], v[114:115]
	v_fma_f64 v[163:164], v[110:111], s[0:1], v[165:166]
	v_fma_f64 v[86:87], v[86:87], -0.5, v[120:121]
	v_fma_f64 v[159:160], v[159:160], s[6:7], v[118:119]
	v_add_f64 v[118:119], v[70:71], v[78:79]
	v_fma_f64 v[161:162], v[82:83], s[14:15], v[161:162]
	v_add_f64 v[151:152], v[88:89], v[151:152]
	v_fma_f64 v[120:121], v[153:154], -0.5, v[78:79]
	s_waitcnt vmcnt(20)
	v_add_f64 v[153:154], v[72:73], -v[64:65]
	v_fma_f64 v[163:164], v[82:83], s[4:5], v[163:164]
	v_fma_f64 v[165:166], v[82:83], s[0:1], v[86:87]
	;; [unrolled: 1-line block ×3, first 2 shown]
	v_add_f64 v[86:87], v[74:75], v[118:119]
	v_add_f64 v[112:113], v[116:117], -v[112:113]
	v_add_f64 v[84:85], v[84:85], -v[88:89]
	;; [unrolled: 1-line block ×3, first 2 shown]
	v_fma_f64 v[88:89], v[153:154], s[0:1], v[120:121]
	v_add_f64 v[118:119], v[70:71], -v[74:75]
	v_add_f64 v[167:168], v[62:63], -v[66:67]
	v_fma_f64 v[120:121], v[153:154], s[10:11], v[120:121]
	v_add_f64 v[169:170], v[62:63], v[70:71]
	v_add_f64 v[86:87], v[66:67], v[86:87]
	v_fma_f64 v[161:162], v[114:115], s[6:7], v[161:162]
	v_fma_f64 v[165:166], v[110:111], s[14:15], v[165:166]
	v_add_f64 v[84:85], v[84:85], v[112:113]
	v_fma_f64 v[82:83], v[110:111], s[4:5], v[82:83]
	v_fma_f64 v[88:89], v[116:117], s[4:5], v[88:89]
	v_add_f64 v[110:111], v[167:168], v[118:119]
	v_fma_f64 v[112:113], v[116:117], s[14:15], v[120:121]
	v_fma_f64 v[78:79], v[169:170], -0.5, v[78:79]
	v_fma_f64 v[163:164], v[114:115], s[6:7], v[163:164]
	v_add_f64 v[114:115], v[68:69], v[76:77]
	v_add_f64 v[118:119], v[62:63], v[86:87]
	;; [unrolled: 1-line block ×3, first 2 shown]
	v_fma_f64 v[165:166], v[84:85], s[6:7], v[165:166]
	v_fma_f64 v[167:168], v[84:85], s[6:7], v[82:83]
	v_fma_f64 v[84:85], v[110:111], s[6:7], v[88:89]
	v_fma_f64 v[88:89], v[110:111], s[6:7], v[112:113]
	v_fma_f64 v[82:83], v[116:117], s[10:11], v[78:79]
	v_fma_f64 v[110:111], v[114:115], -0.5, v[80:81]
	v_add_f64 v[112:113], v[70:71], -v[62:63]
	v_add_f64 v[70:71], v[74:75], -v[70:71]
	;; [unrolled: 1-line block ×3, first 2 shown]
	v_fma_f64 v[78:79], v[116:117], s[0:1], v[78:79]
	v_add_f64 v[114:115], v[72:73], v[80:81]
	v_add_f64 v[66:67], v[74:75], -v[66:67]
	v_fma_f64 v[74:75], v[86:87], -0.5, v[80:81]
	v_add_f64 v[86:87], v[72:73], -v[76:77]
	v_add_f64 v[72:73], v[76:77], -v[72:73]
	v_fma_f64 v[80:81], v[153:154], s[4:5], v[82:83]
	v_add_f64 v[62:63], v[62:63], v[70:71]
	v_fma_f64 v[70:71], v[153:154], s[14:15], v[78:79]
	v_add_f64 v[78:79], v[76:77], v[114:115]
	v_add_f64 v[76:77], v[68:69], -v[64:65]
	v_fma_f64 v[114:115], v[66:67], s[0:1], v[74:75]
	v_fma_f64 v[74:75], v[66:67], s[10:11], v[74:75]
	;; [unrolled: 1-line block ×3, first 2 shown]
	v_add_f64 v[116:117], v[64:65], -v[68:69]
	v_fma_f64 v[110:111], v[112:113], s[0:1], v[110:111]
	s_mov_b32 s16, 0x9b97f4a8
	v_add_f64 v[68:69], v[68:69], v[78:79]
	v_add_f64 v[72:73], v[76:77], v[72:73]
	s_mov_b32 s17, 0x3fe9e377
	v_fma_f64 v[74:75], v[112:113], s[4:5], v[74:75]
	v_fma_f64 v[82:83], v[66:67], s[14:15], v[82:83]
	v_add_f64 v[86:87], v[116:117], v[86:87]
	v_fma_f64 v[80:81], v[62:63], s[6:7], v[80:81]
	v_fma_f64 v[62:63], v[62:63], s[6:7], v[70:71]
	v_add_f64 v[64:65], v[64:65], v[68:69]
	v_fma_f64 v[70:71], v[112:113], s[14:15], v[114:115]
	v_fma_f64 v[66:67], v[66:67], s[4:5], v[110:111]
	;; [unrolled: 1-line block ×3, first 2 shown]
	v_mul_f64 v[78:79], v[84:85], s[16:17]
	v_fma_f64 v[76:77], v[86:87], s[6:7], v[82:83]
	v_mul_f64 v[110:111], v[80:81], s[6:7]
	v_add_f64 v[82:83], v[118:119], v[149:150]
	v_mul_f64 v[80:81], v[80:81], s[10:11]
	v_fma_f64 v[70:71], v[72:73], s[6:7], v[70:71]
	v_fma_f64 v[66:67], v[86:87], s[6:7], v[66:67]
	v_mul_f64 v[112:113], v[68:69], s[6:7]
	v_mul_f64 v[72:73], v[62:63], s[6:7]
	v_fma_f64 v[74:75], v[76:77], s[4:5], v[78:79]
	v_mul_f64 v[78:79], v[88:89], s[16:17]
	s_waitcnt vmcnt(17)
	v_add_f64 v[173:174], v[94:95], v[106:107]
	s_waitcnt vmcnt(11)
	v_add_f64 v[177:178], v[96:97], -v[104:105]
	v_fma_f64 v[114:115], v[70:71], s[0:1], v[110:111]
	v_mul_f64 v[110:111], v[84:85], s[14:15]
	v_fma_f64 v[169:170], v[62:63], s[10:11], -v[112:113]
	v_add_f64 v[112:113], v[90:91], v[98:99]
	v_mul_f64 v[116:117], v[66:67], s[16:17]
	v_fma_f64 v[78:79], v[66:67], s[4:5], -v[78:79]
	v_fma_f64 v[153:154], v[68:69], s[0:1], -v[72:73]
	v_fma_f64 v[80:81], v[70:71], s[6:7], v[80:81]
	v_add_f64 v[86:87], v[147:148], v[114:115]
	v_fma_f64 v[76:77], v[76:77], s[16:17], v[110:111]
	v_add_f64 v[70:71], v[64:65], v[151:152]
	v_fma_f64 v[175:176], v[112:113], -0.5, v[106:107]
	v_add_f64 v[112:113], v[149:150], -v[118:119]
	v_add_f64 v[149:150], v[102:103], v[94:95]
	v_fma_f64 v[171:172], v[88:89], s[14:15], -v[116:117]
	v_add_f64 v[110:111], v[155:156], v[78:79]
	v_add_f64 v[116:117], v[155:156], -v[78:79]
	v_add_f64 v[155:156], v[100:101], -v[92:93]
	v_add_f64 v[88:89], v[159:160], v[153:154]
	v_add_f64 v[72:73], v[161:162], v[76:77]
	v_add_f64 v[120:121], v[147:148], -v[114:115]
	v_fma_f64 v[106:107], v[149:150], -0.5, v[106:107]
	v_add_f64 v[62:63], v[163:164], v[171:172]
	v_add_f64 v[114:115], v[159:160], -v[153:154]
	v_fma_f64 v[153:154], v[177:178], s[0:1], v[175:176]
	v_add_f64 v[64:65], v[151:152], -v[64:65]
	v_add_f64 v[78:79], v[161:162], -v[76:77]
	;; [unrolled: 1-line block ×5, first 2 shown]
	v_fma_f64 v[163:164], v[155:156], s[10:11], v[106:107]
	v_add_f64 v[84:85], v[157:158], v[74:75]
	v_add_f64 v[66:67], v[165:166], v[80:81]
	;; [unrolled: 1-line block ×3, first 2 shown]
	v_add_f64 v[118:119], v[157:158], -v[74:75]
	v_add_f64 v[147:148], v[98:99], v[173:174]
	v_add_f64 v[80:81], v[165:166], -v[80:81]
	v_add_f64 v[74:75], v[167:168], -v[169:170]
	v_fma_f64 v[149:150], v[155:156], s[4:5], v[153:154]
	v_add_f64 v[153:154], v[96:97], v[108:109]
	v_add_f64 v[157:158], v[92:93], v[100:101]
	v_fma_f64 v[161:162], v[177:178], s[10:11], v[175:176]
	v_add_f64 v[165:166], v[98:99], -v[94:95]
	v_add_f64 v[167:168], v[90:91], -v[102:103]
	v_fma_f64 v[106:107], v[155:156], s[0:1], v[106:107]
	v_add_f64 v[151:152], v[159:160], v[151:152]
	v_fma_f64 v[159:160], v[177:178], s[4:5], v[163:164]
	v_add_f64 v[163:164], v[104:105], v[96:97]
	v_add_f64 v[147:148], v[90:91], v[147:148]
	;; [unrolled: 1-line block ×3, first 2 shown]
	v_fma_f64 v[157:158], v[157:158], -0.5, v[108:109]
	v_add_f64 v[94:95], v[94:95], -v[102:103]
	v_fma_f64 v[155:156], v[155:156], s[14:15], v[161:162]
	v_add_f64 v[161:162], v[167:168], v[165:166]
	v_fma_f64 v[106:107], v[177:178], s[14:15], v[106:107]
	v_add_f64 v[90:91], v[98:99], -v[90:91]
	v_fma_f64 v[98:99], v[163:164], -0.5, v[108:109]
	v_add_f64 v[153:154], v[92:93], v[153:154]
	v_add_f64 v[102:103], v[102:103], v[147:148]
	v_fma_f64 v[165:166], v[94:95], s[10:11], v[157:158]
	v_fma_f64 v[147:148], v[151:152], s[6:7], v[149:150]
	v_fma_f64 v[149:150], v[151:152], s[6:7], v[155:156]
	v_fma_f64 v[151:152], v[161:162], s[6:7], v[159:160]
	v_fma_f64 v[106:107], v[161:162], s[6:7], v[106:107]
	v_add_f64 v[155:156], v[96:97], -v[100:101]
	v_add_f64 v[159:160], v[46:47], v[54:55]
	v_add_f64 v[161:162], v[104:105], -v[92:93]
	v_fma_f64 v[157:158], v[94:95], s[0:1], v[157:158]
	v_fma_f64 v[163:164], v[90:91], s[0:1], v[98:99]
	v_add_f64 v[96:97], v[100:101], -v[96:97]
	v_add_f64 v[92:93], v[92:93], -v[104:105]
	v_add_f64 v[100:101], v[58:59], v[50:51]
	v_fma_f64 v[98:99], v[90:91], s[10:11], v[98:99]
	v_add_f64 v[108:109], v[104:105], v[153:154]
	v_fma_f64 v[153:154], v[90:91], s[14:15], v[165:166]
	v_fma_f64 v[104:105], v[159:160], -0.5, v[50:51]
	s_waitcnt vmcnt(10)
	v_add_f64 v[159:160], v[60:61], -v[44:45]
	v_add_f64 v[155:156], v[161:162], v[155:156]
	v_fma_f64 v[90:91], v[90:91], s[4:5], v[157:158]
	v_fma_f64 v[157:158], v[94:95], s[14:15], v[163:164]
	v_add_f64 v[92:93], v[92:93], v[96:97]
	v_add_f64 v[96:97], v[54:55], v[100:101]
	v_fma_f64 v[94:95], v[94:95], s[4:5], v[98:99]
	v_add_f64 v[98:99], v[42:43], v[58:59]
	v_add_f64 v[163:164], v[58:59], -v[54:55]
	v_add_f64 v[165:166], v[42:43], -v[46:47]
	v_fma_f64 v[100:101], v[159:160], s[0:1], v[104:105]
	v_add_f64 v[161:162], v[56:57], -v[48:49]
	v_fma_f64 v[153:154], v[155:156], s[6:7], v[153:154]
	v_add_f64 v[96:97], v[46:47], v[96:97]
	v_fma_f64 v[90:91], v[155:156], s[6:7], v[90:91]
	v_fma_f64 v[50:51], v[98:99], -0.5, v[50:51]
	v_fma_f64 v[155:156], v[92:93], s[6:7], v[157:158]
	v_fma_f64 v[157:158], v[92:93], s[6:7], v[94:95]
	v_add_f64 v[94:95], v[165:166], v[163:164]
	v_add_f64 v[98:99], v[48:49], v[56:57]
	;; [unrolled: 1-line block ×3, first 2 shown]
	v_fma_f64 v[92:93], v[161:162], s[4:5], v[100:101]
	v_add_f64 v[100:101], v[42:43], v[96:97]
	v_fma_f64 v[96:97], v[159:160], s[10:11], v[104:105]
	v_fma_f64 v[104:105], v[161:162], s[10:11], v[50:51]
	v_add_f64 v[165:166], v[54:55], -v[58:59]
	v_add_f64 v[167:168], v[46:47], -v[42:43]
	v_fma_f64 v[98:99], v[98:99], -0.5, v[52:53]
	v_add_f64 v[42:43], v[58:59], -v[42:43]
	v_add_f64 v[46:47], v[54:55], -v[46:47]
	v_fma_f64 v[54:55], v[163:164], -0.5, v[52:53]
	v_fma_f64 v[58:59], v[161:162], s[14:15], v[96:97]
	v_fma_f64 v[96:97], v[159:160], s[4:5], v[104:105]
	;; [unrolled: 1-line block ×3, first 2 shown]
	v_add_f64 v[104:105], v[167:168], v[165:166]
	v_add_f64 v[52:53], v[60:61], v[52:53]
	v_fma_f64 v[161:162], v[42:43], s[10:11], v[98:99]
	v_add_f64 v[163:164], v[60:61], -v[56:57]
	v_add_f64 v[165:166], v[44:45], -v[48:49]
	v_fma_f64 v[167:168], v[46:47], s[0:1], v[54:55]
	v_add_f64 v[60:61], v[56:57], -v[60:61]
	v_add_f64 v[169:170], v[48:49], -v[44:45]
	v_fma_f64 v[92:93], v[94:95], s[6:7], v[92:93]
	v_fma_f64 v[50:51], v[159:160], s[14:15], v[50:51]
	v_add_f64 v[52:53], v[56:57], v[52:53]
	v_fma_f64 v[56:57], v[46:47], s[14:15], v[161:162]
	v_fma_f64 v[98:99], v[42:43], s[0:1], v[98:99]
	;; [unrolled: 1-line block ×3, first 2 shown]
	v_add_f64 v[159:160], v[165:166], v[163:164]
	v_fma_f64 v[161:162], v[42:43], s[14:15], v[167:168]
	v_add_f64 v[60:61], v[169:170], v[60:61]
	v_fma_f64 v[58:59], v[94:95], s[6:7], v[58:59]
	v_fma_f64 v[94:95], v[104:105], s[6:7], v[96:97]
	v_add_f64 v[48:49], v[48:49], v[52:53]
	v_fma_f64 v[46:47], v[46:47], s[4:5], v[98:99]
	v_fma_f64 v[42:43], v[42:43], s[4:5], v[54:55]
	;; [unrolled: 1-line block ×5, first 2 shown]
	v_mul_f64 v[56:57], v[92:93], s[16:17]
	v_mul_f64 v[96:97], v[94:95], s[6:7]
	;; [unrolled: 1-line block ×3, first 2 shown]
	v_add_f64 v[161:162], v[44:45], v[48:49]
	v_fma_f64 v[44:45], v[159:160], s[6:7], v[46:47]
	v_fma_f64 v[46:47], v[60:61], s[6:7], v[42:43]
	v_mul_f64 v[48:49], v[50:51], s[6:7]
	v_mul_f64 v[60:61], v[58:59], s[16:17]
	v_fma_f64 v[56:57], v[52:53], s[4:5], v[56:57]
	v_fma_f64 v[104:105], v[54:55], s[0:1], v[96:97]
	v_mul_f64 v[92:93], v[92:93], s[14:15]
	v_fma_f64 v[167:168], v[54:55], s[6:7], v[94:95]
	s_waitcnt vmcnt(3)
	v_add_f64 v[54:55], v[26:27], v[34:35]
	v_add_f64 v[173:174], v[22:23], v[38:39]
	v_mul_f64 v[96:97], v[46:47], s[6:7]
	v_mul_f64 v[98:99], v[44:45], s[16:17]
	v_fma_f64 v[159:160], v[46:47], s[0:1], -v[48:49]
	v_fma_f64 v[163:164], v[44:45], s[4:5], -v[60:61]
	v_add_f64 v[44:45], v[147:148], v[56:57]
	v_fma_f64 v[165:166], v[52:53], s[16:17], v[92:93]
	v_fma_f64 v[175:176], v[54:55], -0.5, v[38:39]
	s_waitcnt vmcnt(1)
	v_add_f64 v[177:178], v[24:25], -v[32:33]
	v_add_f64 v[54:55], v[147:148], -v[56:57]
	v_add_f64 v[147:148], v[34:35], v[173:174]
	v_add_f64 v[42:43], v[100:101], v[102:103]
	;; [unrolled: 1-line block ×3, first 2 shown]
	v_fma_f64 v[169:170], v[50:51], s[10:11], -v[96:97]
	v_fma_f64 v[171:172], v[58:59], s[14:15], -v[98:99]
	v_add_f64 v[48:49], v[106:107], v[159:160]
	v_add_f64 v[50:51], v[149:150], v[163:164]
	;; [unrolled: 1-line block ×5, first 2 shown]
	v_add_f64 v[52:53], v[102:103], -v[100:101]
	v_add_f64 v[56:57], v[151:152], -v[104:105]
	;; [unrolled: 1-line block ×5, first 2 shown]
	v_add_f64 v[149:150], v[30:31], v[22:23]
	v_fma_f64 v[151:152], v[177:178], s[0:1], v[175:176]
	v_add_f64 v[159:160], v[36:37], -v[28:29]
	v_add_f64 v[161:162], v[22:23], -v[34:35]
	;; [unrolled: 1-line block ×5, first 2 shown]
	v_add_f64 v[153:154], v[26:27], v[147:148]
	v_add_f64 v[155:156], v[28:29], v[36:37]
	v_add_f64 v[95:96], v[157:158], v[169:170]
	v_add_f64 v[97:98], v[90:91], v[171:172]
	v_fma_f64 v[38:39], v[149:150], -0.5, v[38:39]
	v_add_f64 v[147:148], v[157:158], -v[169:170]
	v_fma_f64 v[151:152], v[159:160], s[4:5], v[151:152]
	v_add_f64 v[157:158], v[163:164], v[161:162]
	v_fma_f64 v[161:162], v[177:178], s[10:11], v[175:176]
	v_add_f64 v[149:150], v[90:91], -v[171:172]
	v_add_f64 v[90:91], v[30:31], v[153:154]
	v_add_f64 v[163:164], v[24:25], v[40:41]
	v_fma_f64 v[155:156], v[155:156], -0.5, v[40:41]
	v_add_f64 v[165:166], v[22:23], -v[30:31]
	v_add_f64 v[22:23], v[34:35], -v[22:23]
	;; [unrolled: 1-line block ×3, first 2 shown]
	v_fma_f64 v[153:154], v[159:160], s[10:11], v[38:39]
	v_fma_f64 v[167:168], v[157:158], s[6:7], v[151:152]
	;; [unrolled: 1-line block ×4, first 2 shown]
	v_add_f64 v[159:160], v[36:37], v[163:164]
	v_fma_f64 v[161:162], v[165:166], s[10:11], v[155:156]
	v_add_f64 v[26:27], v[34:35], -v[26:27]
	v_add_f64 v[34:35], v[24:25], -v[36:37]
	v_add_f64 v[163:164], v[32:33], -v[28:29]
	v_add_f64 v[22:23], v[30:31], v[22:23]
	v_add_f64 v[30:31], v[32:33], v[24:25]
	v_fma_f64 v[153:154], v[177:178], s[4:5], v[153:154]
	v_fma_f64 v[38:39], v[177:178], s[14:15], v[38:39]
	v_add_f64 v[159:160], v[28:29], v[159:160]
	v_fma_f64 v[169:170], v[157:158], s[6:7], v[151:152]
	v_add_f64 v[151:152], v[6:7], v[14:15]
	v_fma_f64 v[157:158], v[26:27], s[14:15], v[161:162]
	v_add_f64 v[34:35], v[163:164], v[34:35]
	v_fma_f64 v[30:31], v[30:31], -0.5, v[40:41]
	v_add_f64 v[40:41], v[10:11], v[18:19]
	v_fma_f64 v[161:162], v[22:23], s[6:7], v[153:154]
	v_fma_f64 v[22:23], v[22:23], s[6:7], v[38:39]
	v_add_f64 v[38:39], v[32:33], v[159:160]
	v_fma_f64 v[151:152], v[151:152], -0.5, v[18:19]
	s_waitcnt vmcnt(0)
	v_add_f64 v[153:154], v[12:13], -v[4:5]
	v_fma_f64 v[163:164], v[34:35], s[6:7], v[157:158]
	v_fma_f64 v[155:156], v[165:166], s[0:1], v[155:156]
	;; [unrolled: 1-line block ×3, first 2 shown]
	v_add_f64 v[24:25], v[36:37], -v[24:25]
	v_add_f64 v[28:29], v[28:29], -v[32:33]
	v_fma_f64 v[30:31], v[26:27], s[10:11], v[30:31]
	v_add_f64 v[32:33], v[14:15], v[40:41]
	v_fma_f64 v[36:37], v[153:154], s[0:1], v[151:152]
	v_add_f64 v[40:41], v[16:17], -v[8:9]
	v_add_f64 v[159:160], v[10:11], -v[14:15]
	;; [unrolled: 1-line block ×3, first 2 shown]
	v_fma_f64 v[26:27], v[26:27], s[4:5], v[155:156]
	v_add_f64 v[155:156], v[2:3], v[10:11]
	v_fma_f64 v[157:158], v[165:166], s[14:15], v[157:158]
	v_add_f64 v[24:25], v[28:29], v[24:25]
	;; [unrolled: 2-line block ×4, first 2 shown]
	v_fma_f64 v[151:152], v[153:154], s[10:11], v[151:152]
	v_fma_f64 v[18:19], v[155:156], -0.5, v[18:19]
	v_fma_f64 v[26:27], v[34:35], s[6:7], v[26:27]
	v_fma_f64 v[34:35], v[24:25], s[6:7], v[157:158]
	v_fma_f64 v[24:25], v[24:25], s[6:7], v[28:29]
	v_add_f64 v[28:29], v[2:3], v[30:31]
	v_add_f64 v[30:31], v[8:9], v[16:17]
	;; [unrolled: 1-line block ×3, first 2 shown]
	v_fma_f64 v[151:152], v[40:41], s[14:15], v[151:152]
	v_fma_f64 v[155:156], v[40:41], s[10:11], v[18:19]
	v_add_f64 v[157:158], v[14:15], -v[10:11]
	v_add_f64 v[165:166], v[6:7], -v[2:3]
	v_add_f64 v[171:172], v[12:13], v[20:21]
	v_add_f64 v[2:3], v[10:11], -v[2:3]
	v_fma_f64 v[30:31], v[30:31], -0.5, v[20:21]
	v_add_f64 v[6:7], v[14:15], -v[6:7]
	v_fma_f64 v[14:15], v[159:160], -0.5, v[20:21]
	v_fma_f64 v[18:19], v[40:41], s[0:1], v[18:19]
	v_fma_f64 v[32:33], v[36:37], s[6:7], v[32:33]
	;; [unrolled: 1-line block ×4, first 2 shown]
	v_add_f64 v[20:21], v[165:166], v[157:158]
	v_add_f64 v[40:41], v[16:17], v[171:172]
	v_fma_f64 v[151:152], v[2:3], s[10:11], v[30:31]
	v_add_f64 v[155:156], v[12:13], -v[16:17]
	v_add_f64 v[157:158], v[4:5], -v[8:9]
	v_fma_f64 v[30:31], v[2:3], s[0:1], v[30:31]
	v_fma_f64 v[159:160], v[6:7], s[0:1], v[14:15]
	v_add_f64 v[12:13], v[16:17], -v[12:13]
	v_add_f64 v[16:17], v[8:9], -v[4:5]
	v_fma_f64 v[14:15], v[6:7], s[10:11], v[14:15]
	v_fma_f64 v[18:19], v[153:154], s[14:15], v[18:19]
	v_add_f64 v[8:9], v[8:9], v[40:41]
	v_fma_f64 v[40:41], v[6:7], s[14:15], v[151:152]
	v_add_f64 v[151:152], v[157:158], v[155:156]
	v_fma_f64 v[6:7], v[6:7], s[4:5], v[30:31]
	v_fma_f64 v[30:31], v[2:3], s[14:15], v[159:160]
	v_add_f64 v[12:13], v[16:17], v[12:13]
	v_fma_f64 v[2:3], v[2:3], s[4:5], v[14:15]
	v_fma_f64 v[14:15], v[20:21], s[6:7], v[36:37]
	v_fma_f64 v[16:17], v[20:21], s[6:7], v[18:19]
	v_add_f64 v[36:37], v[4:5], v[8:9]
	v_fma_f64 v[8:9], v[151:152], s[6:7], v[40:41]
	v_mul_f64 v[4:5], v[32:33], s[16:17]
	v_fma_f64 v[6:7], v[151:152], s[6:7], v[6:7]
	v_fma_f64 v[18:19], v[12:13], s[6:7], v[30:31]
	;; [unrolled: 1-line block ×3, first 2 shown]
	v_mul_f64 v[20:21], v[14:15], s[6:7]
	v_mul_f64 v[30:31], v[16:17], s[6:7]
	;; [unrolled: 1-line block ×4, first 2 shown]
	v_fma_f64 v[165:166], v[8:9], s[4:5], v[4:5]
	v_mul_f64 v[14:15], v[14:15], s[10:11]
	v_mul_f64 v[153:154], v[6:7], s[16:17]
	;; [unrolled: 1-line block ×3, first 2 shown]
	v_fma_f64 v[20:21], v[18:19], s[0:1], v[20:21]
	v_fma_f64 v[30:31], v[12:13], s[0:1], -v[30:31]
	v_fma_f64 v[40:41], v[6:7], s[4:5], -v[40:41]
	v_add_f64 v[2:3], v[28:29], v[90:91]
	v_add_f64 v[4:5], v[167:168], v[165:166]
	v_fma_f64 v[32:33], v[8:9], s[16:17], v[32:33]
	v_fma_f64 v[171:172], v[18:19], s[6:7], v[14:15]
	v_fma_f64 v[173:174], v[16:17], s[10:11], -v[151:152]
	v_fma_f64 v[175:176], v[10:11], s[14:15], -v[153:154]
	v_add_f64 v[6:7], v[161:162], v[20:21]
	v_add_f64 v[8:9], v[22:23], v[30:31]
	;; [unrolled: 1-line block ×3, first 2 shown]
	v_add_f64 v[12:13], v[90:91], -v[28:29]
	v_add_f64 v[14:15], v[167:168], -v[165:166]
	;; [unrolled: 1-line block ×5, first 2 shown]
	v_mul_u32_u24_e32 v22, 10, v0
	v_lshl_add_u32 v109, v22, 3, 0
	v_mul_i32_i24_e32 v22, 10, v130
	ds_write_b128 v109, v[82:85]
	ds_write_b128 v109, v[86:89] offset:16
	ds_write_b128 v109, v[110:113] offset:32
	ds_write_b128 v109, v[118:121] offset:48
	ds_write_b128 v109, v[114:117] offset:64
	v_lshl_add_u32 v84, v22, 3, 0
	v_mul_i32_i24_e32 v22, 10, v135
	s_movk_i32 s0, 0xffb8
	v_lshl_add_u32 v85, v22, 3, 0
	v_mad_i32_i24 v86, v0, s0, v109
	v_lshl_add_u32 v87, v145, 3, 0
	v_mad_i32_i24 v91, v130, s0, v84
	v_add_f64 v[151:152], v[36:37], v[38:39]
	v_add_f64 v[153:154], v[163:164], v[32:33]
	;; [unrolled: 1-line block ×5, first 2 shown]
	v_add_f64 v[161:162], v[38:39], -v[36:37]
	v_add_f64 v[163:164], v[163:164], -v[32:33]
	;; [unrolled: 1-line block ×5, first 2 shown]
	ds_write_b128 v84, v[42:45]
	ds_write_b128 v84, v[46:49] offset:16
	ds_write_b128 v84, v[50:53] offset:32
	;; [unrolled: 1-line block ×4, first 2 shown]
	ds_write_b128 v85, v[2:5]
	ds_write_b128 v85, v[6:9] offset:16
	ds_write_b128 v85, v[10:13] offset:32
	;; [unrolled: 1-line block ×4, first 2 shown]
	s_waitcnt lgkmcnt(0)
	s_barrier
	ds_read2st64_b64 v[2:5], v86 offset1:12
	v_lshl_add_u32 v90, v129, 3, 0
	ds_read2st64_b64 v[14:17], v86 offset0:28 offset1:30
	ds_read2st64_b64 v[46:49], v86 offset0:40 offset1:42
	;; [unrolled: 1-line block ×6, first 2 shown]
	v_mad_i32_i24 v92, v135, s0, v85
	ds_read_b64 v[56:57], v91
	ds_read_b64 v[54:55], v92
	ds_read2st64_b64 v[34:37], v86 offset0:14 offset1:16
	ds_read2st64_b64 v[30:33], v86 offset0:24 offset1:26
	;; [unrolled: 1-line block ×3, first 2 shown]
	v_lshl_add_u32 v88, v140, 3, 0
	ds_read2st64_b64 v[22:25], v86 offset0:36 offset1:38
	ds_read2st64_b64 v[6:9], v86 offset0:56 offset1:58
	v_lshl_add_u32 v89, v143, 3, 0
	ds_read_b64 v[82:83], v87
	ds_read_b64 v[207:208], v90
	;; [unrolled: 1-line block ×4, first 2 shown]
	s_waitcnt lgkmcnt(0)
	s_barrier
	ds_write_b128 v109, v[70:73]
	ds_write_b128 v109, v[66:69] offset:16
	ds_write_b128 v109, v[62:65] offset:32
	ds_write_b128 v109, v[78:81] offset:48
	ds_write_b128 v109, v[74:77] offset:64
	ds_write_b128 v84, v[58:61]
	ds_write_b128 v84, v[93:96] offset:16
	ds_write_b128 v84, v[97:100] offset:32
	ds_write_b128 v84, v[105:108] offset:48
	ds_write_b128 v84, v[147:150] offset:64
	;; [unrolled: 5-line block ×3, first 2 shown]
	v_mul_lo_u16_e32 v58, 0x67, v0
	v_lshrrev_b16_e32 v62, 10, v58
	v_mul_lo_u16_e32 v58, 10, v62
	v_sub_u16_e32 v63, v0, v58
	v_mov_b32_e32 v58, 5
	v_mul_u32_u24_sdwa v59, v63, v58 dst_sel:DWORD dst_unused:UNUSED_PAD src0_sel:BYTE_0 src1_sel:DWORD
	v_lshlrev_b32_e32 v59, 4, v59
	s_waitcnt lgkmcnt(0)
	s_barrier
	global_load_dwordx4 v[70:73], v59, s[8:9]
	global_load_dwordx4 v[74:77], v59, s[8:9] offset:16
	global_load_dwordx4 v[78:81], v59, s[8:9] offset:32
	;; [unrolled: 1-line block ×3, first 2 shown]
	s_movk_i32 s0, 0xcd
	global_load_dwordx4 v[97:100], v59, s[8:9] offset:64
	v_mul_lo_u16_sdwa v59, v130, s0 dst_sel:DWORD dst_unused:UNUSED_PAD src0_sel:BYTE_0 src1_sel:DWORD
	v_lshrrev_b16_e32 v64, 11, v59
	v_mul_lo_u16_e32 v59, 10, v64
	v_sub_u16_e32 v65, v130, v59
	v_mul_u32_u24_sdwa v58, v65, v58 dst_sel:DWORD dst_unused:UNUSED_PAD src0_sel:BYTE_0 src1_sel:DWORD
	v_lshlrev_b32_e32 v58, 4, v58
	global_load_dwordx4 v[101:104], v58, s[8:9]
	global_load_dwordx4 v[105:108], v58, s[8:9] offset:16
	global_load_dwordx4 v[109:112], v58, s[8:9] offset:48
	;; [unrolled: 1-line block ×4, first 2 shown]
	s_mov_b32 s0, 0xcccd
	v_mul_u32_u24_sdwa v58, v135, s0 dst_sel:DWORD dst_unused:UNUSED_PAD src0_sel:WORD_0 src1_sel:DWORD
	v_lshrrev_b32_e32 v66, 19, v58
	v_mul_lo_u16_e32 v58, 10, v66
	v_sub_u16_e32 v67, v135, v58
	v_mul_u32_u24_e32 v58, 5, v67
	v_lshlrev_b32_e32 v68, 4, v58
	global_load_dwordx4 v[147:150], v68, s[8:9]
	global_load_dwordx4 v[151:154], v68, s[8:9] offset:32
	global_load_dwordx4 v[155:158], v68, s[8:9] offset:48
	;; [unrolled: 1-line block ×3, first 2 shown]
	ds_read2st64_b64 v[163:166], v86 offset1:12
	ds_read2st64_b64 v[167:170], v86 offset0:28 offset1:30
	ds_read2st64_b64 v[171:174], v86 offset0:40 offset1:42
	ds_read_b64 v[209:210], v87
	ds_read2st64_b64 v[175:178], v86 offset0:48 offset1:50
	ds_read_b64 v[223:224], v90
	ds_read_b64 v[60:61], v88
	;; [unrolled: 1-line block ×3, first 2 shown]
	global_load_dwordx4 v[179:182], v68, s[8:9] offset:64
	v_mul_u32_u24_sdwa v69, v140, s0 dst_sel:DWORD dst_unused:UNUSED_PAD src0_sel:WORD_0 src1_sel:DWORD
	v_lshrrev_b32_e32 v68, 19, v69
	v_mul_lo_u16_e32 v69, 10, v68
	v_sub_u16_e32 v69, v140, v69
	v_mul_u32_u24_e32 v121, 5, v69
	v_lshlrev_b32_e32 v121, 4, v121
	global_load_dwordx4 v[183:186], v121, s[8:9]
	ds_read2st64_b64 v[187:190], v86 offset0:18 offset1:22
	ds_read2st64_b64 v[191:194], v86 offset0:32 offset1:34
	global_load_dwordx4 v[195:198], v121, s[8:9] offset:32
	global_load_dwordx4 v[199:202], v121, s[8:9] offset:16
	ds_read2st64_b64 v[203:206], v86 offset0:52 offset1:54
	s_mov_b32 s5, 0xbfebb67a
	s_movk_i32 s6, 0x1000
	s_waitcnt vmcnt(17) lgkmcnt(7)
	v_mul_f64 v[211:212], v[209:210], v[72:73]
	v_mul_f64 v[72:73], v[82:83], v[72:73]
	s_waitcnt vmcnt(16) lgkmcnt(5)
	v_mul_f64 v[213:214], v[223:224], v[76:77]
	s_waitcnt vmcnt(15)
	v_mul_f64 v[231:232], v[16:17], v[80:81]
	s_waitcnt vmcnt(14)
	v_mul_f64 v[233:234], v[171:172], v[95:96]
	v_mul_f64 v[95:96], v[46:47], v[95:96]
	s_waitcnt vmcnt(13)
	v_mul_f64 v[235:236], v[177:178], v[99:100]
	v_fma_f64 v[225:226], v[82:83], v[70:71], -v[211:212]
	v_fma_f64 v[227:228], v[209:210], v[70:71], v[72:73]
	v_fma_f64 v[229:230], v[207:208], v[74:75], -v[213:214]
	v_mul_f64 v[72:73], v[207:208], v[76:77]
	global_load_dwordx4 v[207:210], v121, s[8:9] offset:48
	global_load_dwordx4 v[211:214], v121, s[8:9] offset:64
	v_mul_u32_u24_sdwa v70, v143, s0 dst_sel:DWORD dst_unused:UNUSED_PAD src0_sel:WORD_0 src1_sel:DWORD
	v_lshrrev_b32_e32 v70, 19, v70
	v_mul_lo_u16_e32 v71, 10, v70
	v_sub_u16_e32 v71, v143, v71
	v_mul_u32_u24_e32 v82, 5, v71
	v_lshlrev_b32_e32 v121, 4, v82
	global_load_dwordx4 v[215:218], v121, s[8:9] offset:16
	global_load_dwordx4 v[219:222], v121, s[8:9]
	v_mul_f64 v[76:77], v[169:170], v[80:81]
	v_fma_f64 v[223:224], v[223:224], v[74:75], v[72:73]
	global_load_dwordx4 v[72:75], v121, s[8:9] offset:48
	global_load_dwordx4 v[80:83], v121, s[8:9] offset:32
	v_fma_f64 v[169:170], v[169:170], v[78:79], v[231:232]
	v_fma_f64 v[231:232], v[46:47], v[93:94], -v[233:234]
	v_mul_f64 v[46:47], v[12:13], v[99:100]
	s_waitcnt vmcnt(18)
	v_mul_f64 v[99:100], v[165:166], v[103:104]
	v_fma_f64 v[171:172], v[171:172], v[93:94], v[95:96]
	v_fma_f64 v[16:17], v[16:17], v[78:79], -v[76:77]
	global_load_dwordx4 v[76:79], v121, s[8:9] offset:64
	v_mul_f64 v[93:94], v[4:5], v[103:104]
	s_waitcnt vmcnt(18) lgkmcnt(2)
	v_mul_f64 v[103:104], v[189:190], v[107:108]
	v_mul_f64 v[107:108], v[20:21], v[107:108]
	v_fma_f64 v[12:13], v[12:13], v[97:98], -v[235:236]
	v_fma_f64 v[177:178], v[177:178], v[97:98], v[46:47]
	v_fma_f64 v[4:5], v[4:5], v[101:102], -v[99:100]
	s_waitcnt vmcnt(17)
	v_mul_f64 v[46:47], v[173:174], v[111:112]
	v_mul_f64 v[97:98], v[48:49], v[111:112]
	s_waitcnt vmcnt(16) lgkmcnt(1)
	v_mul_f64 v[99:100], v[191:192], v[115:116]
	v_fma_f64 v[20:21], v[20:21], v[105:106], -v[103:104]
	v_fma_f64 v[103:104], v[189:190], v[105:106], v[107:108]
	v_mul_f64 v[105:106], v[42:43], v[115:116]
	s_waitcnt vmcnt(15) lgkmcnt(0)
	v_mul_f64 v[111:112], v[203:204], v[119:120]
	v_fma_f64 v[101:102], v[165:166], v[101:102], v[93:94]
	ds_read2st64_b64 v[93:96], v86 offset0:14 offset1:16
	v_mul_f64 v[115:116], v[38:39], v[119:120]
	v_fma_f64 v[165:166], v[42:43], v[113:114], -v[99:100]
	v_fma_f64 v[107:108], v[48:49], v[109:110], -v[46:47]
	v_fma_f64 v[109:110], v[173:174], v[109:110], v[97:98]
	s_waitcnt vmcnt(14) lgkmcnt(0)
	v_mul_f64 v[119:120], v[93:94], v[149:150]
	v_fma_f64 v[105:106], v[191:192], v[113:114], v[105:106]
	s_waitcnt vmcnt(13)
	v_mul_f64 v[113:114], v[193:194], v[153:154]
	v_fma_f64 v[111:112], v[38:39], v[117:118], -v[111:112]
	v_mul_f64 v[38:39], v[44:45], v[153:154]
	ds_read2st64_b64 v[97:100], v86 offset0:44 offset1:46
	v_mul_f64 v[42:43], v[34:35], v[149:150]
	ds_read2st64_b64 v[46:49], v86 offset0:24 offset1:26
	v_fma_f64 v[34:35], v[34:35], v[147:148], -v[119:120]
	s_waitcnt vmcnt(11)
	v_mul_f64 v[119:120], v[30:31], v[161:162]
	v_fma_f64 v[113:114], v[44:45], v[151:152], -v[113:114]
	s_waitcnt lgkmcnt(1)
	v_mul_f64 v[153:154], v[97:98], v[157:158]
	v_fma_f64 v[151:152], v[193:194], v[151:152], v[38:39]
	v_mul_f64 v[38:39], v[26:27], v[157:158]
	s_waitcnt vmcnt(10)
	v_mul_f64 v[157:158], v[205:206], v[181:182]
	v_fma_f64 v[115:116], v[203:204], v[117:118], v[115:116]
	s_waitcnt lgkmcnt(0)
	v_mul_f64 v[117:118], v[46:47], v[161:162]
	v_fma_f64 v[46:47], v[46:47], v[159:160], v[119:120]
	s_waitcnt vmcnt(9)
	v_mul_f64 v[119:120], v[95:96], v[185:186]
	v_fma_f64 v[26:27], v[26:27], v[155:156], -v[153:154]
	v_fma_f64 v[93:94], v[93:94], v[147:148], v[42:43]
	v_fma_f64 v[97:98], v[97:98], v[155:156], v[38:39]
	v_fma_f64 v[153:154], v[40:41], v[179:180], -v[157:158]
	v_mul_f64 v[155:156], v[36:37], v[185:186]
	s_waitcnt vmcnt(7)
	v_mul_f64 v[157:158], v[48:49], v[201:202]
	ds_read_b64 v[147:148], v91
	ds_read_b64 v[149:150], v92
	ds_read2st64_b64 v[42:45], v86 offset0:36 offset1:38
	v_fma_f64 v[30:31], v[30:31], v[159:160], -v[117:118]
	v_mul_f64 v[159:160], v[32:33], v[201:202]
	v_fma_f64 v[36:37], v[36:37], v[183:184], -v[119:120]
	v_mul_f64 v[161:162], v[22:23], v[197:198]
	s_waitcnt lgkmcnt(0)
	v_mul_f64 v[119:120], v[42:43], v[197:198]
	v_fma_f64 v[95:96], v[95:96], v[183:184], v[155:156]
	v_fma_f64 v[32:33], v[32:33], v[199:200], -v[157:158]
	v_mul_f64 v[117:118], v[40:41], v[181:182]
	ds_read2st64_b64 v[38:41], v86 offset0:56 offset1:58
	v_fma_f64 v[48:49], v[48:49], v[199:200], v[159:160]
	s_mov_b32 s0, 0xe8584caa
	v_fma_f64 v[42:43], v[42:43], v[195:196], v[161:162]
	v_fma_f64 v[22:23], v[22:23], v[195:196], -v[119:120]
	s_mov_b32 s1, 0x3febb67a
	s_mov_b32 s4, s0
	s_waitcnt vmcnt(6)
	v_mul_f64 v[155:156], v[99:100], v[209:210]
	v_mul_f64 v[157:158], v[28:29], v[209:210]
	s_waitcnt vmcnt(5)
	v_mul_f64 v[119:120], v[6:7], v[213:214]
	s_waitcnt lgkmcnt(0)
	v_mul_f64 v[159:160], v[38:39], v[213:214]
	v_fma_f64 v[117:118], v[205:206], v[179:180], v[117:118]
	v_add_f64 v[173:174], v[223:224], v[171:172]
	v_add_f64 v[179:180], v[163:164], v[223:224]
	s_waitcnt vmcnt(4)
	v_mul_f64 v[161:162], v[14:15], v[217:218]
	v_fma_f64 v[28:29], v[28:29], v[207:208], -v[155:156]
	s_waitcnt vmcnt(3)
	v_mul_f64 v[155:156], v[187:188], v[221:222]
	v_fma_f64 v[99:100], v[99:100], v[207:208], v[157:158]
	v_mul_f64 v[157:158], v[18:19], v[221:222]
	v_fma_f64 v[38:39], v[38:39], v[211:212], v[119:120]
	s_waitcnt vmcnt(1)
	v_mul_f64 v[119:120], v[44:45], v[82:83]
	v_mul_f64 v[82:83], v[24:25], v[82:83]
	v_fma_f64 v[6:7], v[6:7], v[211:212], -v[159:160]
	v_mul_f64 v[159:160], v[167:168], v[217:218]
	v_fma_f64 v[18:19], v[18:19], v[219:220], -v[155:156]
	v_fma_f64 v[155:156], v[187:188], v[219:220], v[157:158]
	v_mul_f64 v[157:158], v[175:176], v[74:75]
	v_mul_f64 v[74:75], v[10:11], v[74:75]
	v_fma_f64 v[24:25], v[24:25], v[80:81], -v[119:120]
	s_waitcnt vmcnt(0)
	v_mul_f64 v[119:120], v[40:41], v[78:79]
	v_fma_f64 v[44:45], v[44:45], v[80:81], v[82:83]
	v_add_f64 v[80:81], v[229:230], v[231:232]
	v_add_f64 v[82:83], v[2:3], v[229:230]
	v_fma_f64 v[14:15], v[14:15], v[215:216], -v[159:160]
	v_fma_f64 v[10:11], v[10:11], v[72:73], -v[157:158]
	v_add_f64 v[157:158], v[16:17], v[12:13]
	v_fma_f64 v[72:73], v[175:176], v[72:73], v[74:75]
	v_add_f64 v[74:75], v[169:170], v[177:178]
	v_fma_f64 v[159:160], v[167:168], v[215:216], v[161:162]
	v_fma_f64 v[119:120], v[8:9], v[76:77], -v[119:120]
	v_mul_f64 v[8:9], v[8:9], v[78:79]
	v_fma_f64 v[2:3], v[80:81], -0.5, v[2:3]
	v_add_f64 v[78:79], v[223:224], -v[171:172]
	v_add_f64 v[80:81], v[82:83], v[231:232]
	v_fma_f64 v[82:83], v[157:158], -0.5, v[225:226]
	v_add_f64 v[157:158], v[169:170], -v[177:178]
	v_fma_f64 v[74:75], v[74:75], -0.5, v[227:228]
	v_add_f64 v[161:162], v[16:17], -v[12:13]
	v_add_f64 v[16:17], v[225:226], v[16:17]
	v_add_f64 v[171:172], v[179:180], v[171:172]
	v_fma_f64 v[167:168], v[78:79], s[0:1], v[2:3]
	v_fma_f64 v[2:3], v[78:79], s[4:5], v[2:3]
	v_add_f64 v[169:170], v[227:228], v[169:170]
	v_fma_f64 v[175:176], v[157:158], s[4:5], v[82:83]
	v_fma_f64 v[82:83], v[157:158], s[0:1], v[82:83]
	;; [unrolled: 1-line block ×4, first 2 shown]
	v_fma_f64 v[157:158], v[173:174], -0.5, v[163:164]
	v_add_f64 v[161:162], v[229:230], -v[231:232]
	v_add_f64 v[12:13], v[16:17], v[12:13]
	v_fma_f64 v[8:9], v[40:41], v[76:77], v[8:9]
	v_mul_f64 v[173:174], v[175:176], -0.5
	v_mul_f64 v[181:182], v[82:83], s[4:5]
	v_mul_f64 v[163:164], v[78:79], s[0:1]
	v_mul_f64 v[179:180], v[74:75], -0.5
	s_barrier
	v_fma_f64 v[183:184], v[161:162], s[4:5], v[157:158]
	v_fma_f64 v[157:158], v[161:162], s[0:1], v[157:158]
	v_add_f64 v[40:41], v[80:81], v[12:13]
	v_fma_f64 v[74:75], v[74:75], s[0:1], v[173:174]
	v_fma_f64 v[78:79], v[78:79], 0.5, v[181:182]
	v_fma_f64 v[16:17], v[82:83], 0.5, v[163:164]
	v_fma_f64 v[161:162], v[175:176], s[4:5], v[179:180]
	v_add_f64 v[175:176], v[20:21], v[107:108]
	v_add_f64 v[179:180], v[165:166], v[111:112]
	;; [unrolled: 1-line block ×5, first 2 shown]
	v_add_f64 v[12:13], v[80:81], -v[12:13]
	v_add_f64 v[76:77], v[167:168], v[16:17]
	v_add_f64 v[16:17], v[167:168], -v[16:17]
	v_add_f64 v[2:3], v[2:3], -v[74:75]
	v_add_f64 v[74:75], v[56:57], v[20:21]
	v_fma_f64 v[56:57], v[175:176], -0.5, v[56:57]
	v_add_f64 v[80:81], v[103:104], -v[109:110]
	v_fma_f64 v[167:168], v[179:180], -0.5, v[4:5]
	v_fma_f64 v[175:176], v[181:182], -0.5, v[101:102]
	v_add_f64 v[179:180], v[165:166], -v[111:112]
	v_add_f64 v[181:182], v[105:106], -v[115:116]
	v_add_f64 v[169:170], v[171:172], v[82:83]
	v_add_f64 v[173:174], v[183:184], v[78:79]
	v_add_f64 v[82:83], v[171:172], -v[82:83]
	v_add_f64 v[78:79], v[183:184], -v[78:79]
	v_add_f64 v[171:172], v[103:104], v[109:110]
	v_fma_f64 v[183:184], v[80:81], s[0:1], v[56:57]
	v_fma_f64 v[56:57], v[80:81], s[4:5], v[56:57]
	;; [unrolled: 1-line block ×4, first 2 shown]
	v_add_f64 v[74:75], v[74:75], v[107:108]
	v_add_f64 v[103:104], v[147:148], v[103:104]
	v_fma_f64 v[167:168], v[181:182], s[0:1], v[167:168]
	v_fma_f64 v[147:148], v[171:172], -0.5, v[147:148]
	v_fma_f64 v[171:172], v[179:180], s[0:1], v[175:176]
	v_add_f64 v[20:21], v[20:21], -v[107:108]
	v_add_f64 v[4:5], v[4:5], v[165:166]
	v_mul_f64 v[107:108], v[80:81], s[0:1]
	v_mul_f64 v[165:166], v[185:186], -0.5
	v_add_f64 v[101:102], v[101:102], v[105:106]
	v_mul_f64 v[105:106], v[167:168], s[4:5]
	v_add_f64 v[103:104], v[103:104], v[109:110]
	v_mul_f64 v[109:110], v[171:172], -0.5
	v_add_f64 v[179:180], v[113:114], v[153:154]
	v_add_f64 v[4:5], v[4:5], v[111:112]
	v_fma_f64 v[107:108], v[167:168], 0.5, v[107:108]
	v_fma_f64 v[111:112], v[171:172], s[0:1], v[165:166]
	v_add_f64 v[167:168], v[30:31], v[26:27]
	v_add_f64 v[181:182], v[151:152], v[117:118]
	;; [unrolled: 1-line block ×3, first 2 shown]
	v_fma_f64 v[175:176], v[20:21], s[4:5], v[147:148]
	v_add_f64 v[101:102], v[101:102], v[115:116]
	v_fma_f64 v[80:81], v[80:81], 0.5, v[105:106]
	v_fma_f64 v[20:21], v[20:21], s[0:1], v[147:148]
	v_fma_f64 v[105:106], v[185:186], s[4:5], v[109:110]
	v_add_f64 v[109:110], v[157:158], -v[161:162]
	v_add_f64 v[115:116], v[74:75], v[4:5]
	v_add_f64 v[147:148], v[183:184], v[107:108]
	;; [unrolled: 1-line block ×3, first 2 shown]
	v_add_f64 v[4:5], v[74:75], -v[4:5]
	v_add_f64 v[74:75], v[183:184], -v[107:108]
	v_add_f64 v[56:57], v[56:57], -v[111:112]
	v_add_f64 v[107:108], v[54:55], v[30:31]
	v_fma_f64 v[54:55], v[167:168], -0.5, v[54:55]
	v_add_f64 v[111:112], v[46:47], -v[97:98]
	v_fma_f64 v[167:168], v[179:180], -0.5, v[34:35]
	v_fma_f64 v[179:180], v[181:182], -0.5, v[93:94]
	v_add_f64 v[181:182], v[113:114], -v[153:154]
	v_add_f64 v[183:184], v[151:152], -v[117:118]
	v_add_f64 v[161:162], v[103:104], v[101:102]
	v_add_f64 v[165:166], v[175:176], v[80:81]
	v_add_f64 v[101:102], v[103:104], -v[101:102]
	v_add_f64 v[80:81], v[175:176], -v[80:81]
	v_add_f64 v[103:104], v[46:47], v[97:98]
	v_fma_f64 v[175:176], v[111:112], s[0:1], v[54:55]
	v_fma_f64 v[54:55], v[111:112], s[4:5], v[54:55]
	v_fma_f64 v[111:112], v[181:182], s[4:5], v[179:180]
	v_fma_f64 v[185:186], v[183:184], s[4:5], v[167:168]
	v_add_f64 v[107:108], v[107:108], v[26:27]
	v_add_f64 v[46:47], v[149:150], v[46:47]
	v_fma_f64 v[167:168], v[183:184], s[0:1], v[167:168]
	v_fma_f64 v[103:104], v[103:104], -0.5, v[149:150]
	v_fma_f64 v[149:150], v[181:182], s[0:1], v[179:180]
	v_add_f64 v[26:27], v[30:31], -v[26:27]
	v_add_f64 v[30:31], v[34:35], v[113:114]
	v_mul_f64 v[34:35], v[111:112], s[0:1]
	v_mul_f64 v[113:114], v[185:186], -0.5
	v_add_f64 v[93:94], v[93:94], v[151:152]
	v_mul_f64 v[151:152], v[167:168], s[4:5]
	v_add_f64 v[46:47], v[46:47], v[97:98]
	v_mul_f64 v[97:98], v[149:150], -0.5
	v_add_f64 v[181:182], v[22:23], v[6:7]
	v_add_f64 v[30:31], v[30:31], v[153:154]
	v_fma_f64 v[34:35], v[167:168], 0.5, v[34:35]
	v_fma_f64 v[113:114], v[149:150], s[0:1], v[113:114]
	v_add_f64 v[93:94], v[93:94], v[117:118]
	v_add_f64 v[153:154], v[32:33], v[28:29]
	;; [unrolled: 1-line block ×4, first 2 shown]
	v_fma_f64 v[179:180], v[26:27], s[4:5], v[103:104]
	v_fma_f64 v[111:112], v[111:112], 0.5, v[151:152]
	v_fma_f64 v[26:27], v[26:27], s[0:1], v[103:104]
	v_fma_f64 v[97:98], v[185:186], s[4:5], v[97:98]
	v_add_f64 v[103:104], v[20:21], -v[105:106]
	v_add_f64 v[20:21], v[107:108], v[30:31]
	v_add_f64 v[105:106], v[175:176], v[34:35]
	;; [unrolled: 1-line block ×4, first 2 shown]
	v_add_f64 v[30:31], v[107:108], -v[30:31]
	v_add_f64 v[34:35], v[175:176], -v[34:35]
	;; [unrolled: 1-line block ×3, first 2 shown]
	v_add_f64 v[107:108], v[52:53], v[32:33]
	v_fma_f64 v[52:53], v[153:154], -0.5, v[52:53]
	v_add_f64 v[113:114], v[48:49], -v[99:100]
	v_fma_f64 v[153:154], v[181:182], -0.5, v[36:37]
	v_fma_f64 v[175:176], v[183:184], -0.5, v[95:96]
	v_add_f64 v[181:182], v[22:23], -v[6:7]
	v_add_f64 v[183:184], v[42:43], -v[38:39]
	;; [unrolled: 1-line block ×3, first 2 shown]
	v_add_f64 v[46:47], v[48:49], v[99:100]
	v_add_f64 v[151:152], v[179:180], v[111:112]
	v_add_f64 v[111:112], v[179:180], -v[111:112]
	v_add_f64 v[93:94], v[107:108], v[28:29]
	v_fma_f64 v[107:108], v[113:114], s[0:1], v[52:53]
	v_fma_f64 v[52:53], v[113:114], s[4:5], v[52:53]
	v_fma_f64 v[113:114], v[181:182], s[4:5], v[175:176]
	v_fma_f64 v[179:180], v[183:184], s[4:5], v[153:154]
	v_add_f64 v[48:49], v[60:61], v[48:49]
	v_fma_f64 v[153:154], v[183:184], s[0:1], v[153:154]
	v_fma_f64 v[46:47], v[46:47], -0.5, v[60:61]
	v_fma_f64 v[60:61], v[181:182], s[0:1], v[175:176]
	v_add_f64 v[28:29], v[32:33], -v[28:29]
	v_add_f64 v[22:23], v[36:37], v[22:23]
	v_mul_f64 v[32:33], v[113:114], s[0:1]
	v_mul_f64 v[36:37], v[179:180], -0.5
	v_add_f64 v[42:43], v[95:96], v[42:43]
	v_mul_f64 v[95:96], v[153:154], s[4:5]
	v_add_f64 v[48:49], v[48:49], v[99:100]
	v_mul_f64 v[99:100], v[60:61], -0.5
	v_add_f64 v[181:182], v[44:45], v[8:9]
	v_add_f64 v[6:7], v[22:23], v[6:7]
	v_fma_f64 v[22:23], v[153:154], 0.5, v[32:33]
	v_fma_f64 v[32:33], v[60:61], s[0:1], v[36:37]
	v_add_f64 v[36:37], v[42:43], v[38:39]
	v_fma_f64 v[38:39], v[113:114], 0.5, v[95:96]
	v_add_f64 v[113:114], v[14:15], v[10:11]
	v_fma_f64 v[42:43], v[179:180], s[4:5], v[99:100]
	v_add_f64 v[179:180], v[24:25], v[119:120]
	v_fma_f64 v[175:176], v[28:29], s[4:5], v[46:47]
	v_fma_f64 v[28:29], v[28:29], s[0:1], v[46:47]
	v_add_f64 v[46:47], v[93:94], v[6:7]
	v_add_f64 v[60:61], v[107:108], v[22:23]
	;; [unrolled: 1-line block ×3, first 2 shown]
	v_add_f64 v[6:7], v[93:94], -v[6:7]
	v_add_f64 v[22:23], v[107:108], -v[22:23]
	;; [unrolled: 1-line block ×3, first 2 shown]
	v_add_f64 v[52:53], v[50:51], v[14:15]
	v_fma_f64 v[50:51], v[113:114], -0.5, v[50:51]
	v_add_f64 v[93:94], v[159:160], -v[72:73]
	v_fma_f64 v[107:108], v[179:180], -0.5, v[18:19]
	v_fma_f64 v[113:114], v[181:182], -0.5, v[155:156]
	v_add_f64 v[179:180], v[24:25], -v[119:120]
	v_add_f64 v[181:182], v[44:45], -v[8:9]
	v_add_f64 v[167:168], v[26:27], v[97:98]
	v_add_f64 v[26:27], v[26:27], -v[97:98]
	v_add_f64 v[97:98], v[48:49], v[36:37]
	v_add_f64 v[187:188], v[48:49], -v[36:37]
	v_fma_f64 v[48:49], v[93:94], s[0:1], v[50:51]
	v_fma_f64 v[50:51], v[93:94], s[4:5], v[50:51]
	;; [unrolled: 1-line block ×3, first 2 shown]
	v_add_f64 v[183:184], v[159:160], v[72:73]
	v_add_f64 v[36:37], v[52:53], v[10:11]
	;; [unrolled: 1-line block ×3, first 2 shown]
	v_fma_f64 v[159:160], v[181:182], s[4:5], v[107:108]
	v_fma_f64 v[113:114], v[179:180], s[0:1], v[113:114]
	;; [unrolled: 1-line block ×3, first 2 shown]
	v_add_f64 v[18:19], v[18:19], v[24:25]
	v_mul_f64 v[24:25], v[93:94], s[0:1]
	v_add_f64 v[44:45], v[155:156], v[44:45]
	v_fma_f64 v[58:59], v[183:184], -0.5, v[58:59]
	v_add_f64 v[10:11], v[14:15], -v[10:11]
	v_add_f64 v[14:15], v[52:53], v[72:73]
	v_mul_f64 v[52:53], v[159:160], -0.5
	v_mul_f64 v[155:156], v[113:114], -0.5
	v_mul_f64 v[72:73], v[107:108], s[4:5]
	v_add_f64 v[18:19], v[18:19], v[119:120]
	v_fma_f64 v[24:25], v[107:108], 0.5, v[24:25]
	v_add_f64 v[8:9], v[44:45], v[8:9]
	v_fma_f64 v[179:180], v[10:11], s[4:5], v[58:59]
	v_fma_f64 v[10:11], v[10:11], s[0:1], v[58:59]
	;; [unrolled: 1-line block ×4, first 2 shown]
	v_add_f64 v[99:100], v[175:176], v[38:39]
	v_add_f64 v[153:154], v[28:29], v[42:43]
	v_fma_f64 v[44:45], v[93:94], 0.5, v[72:73]
	v_add_f64 v[72:73], v[175:176], -v[38:39]
	v_add_f64 v[28:29], v[28:29], -v[42:43]
	v_add_f64 v[38:39], v[36:37], v[18:19]
	v_add_f64 v[42:43], v[48:49], v[24:25]
	;; [unrolled: 1-line block ×3, first 2 shown]
	v_add_f64 v[155:156], v[14:15], -v[8:9]
	v_mov_b32_e32 v8, 3
	v_add_f64 v[93:94], v[50:51], v[52:53]
	v_add_f64 v[119:120], v[10:11], v[58:59]
	v_add_f64 v[18:19], v[36:37], -v[18:19]
	v_add_f64 v[9:10], v[10:11], -v[58:59]
	v_mul_u32_u24_e32 v11, 0x1e0, v62
	v_lshlrev_b32_sdwa v14, v8, v63 dst_sel:DWORD dst_unused:UNUSED_PAD src0_sel:DWORD src1_sel:BYTE_0
	v_add_f64 v[24:25], v[48:49], -v[24:25]
	v_add_f64 v[36:37], v[50:51], -v[52:53]
	v_add3_u32 v11, 0, v11, v14
	ds_write2_b64 v11, v[40:41], v[76:77] offset1:10
	ds_write2_b64 v11, v[163:164], v[12:13] offset0:20 offset1:30
	ds_write2_b64 v11, v[16:17], v[2:3] offset0:40 offset1:50
	v_mul_u32_u24_e32 v2, 0x1e0, v64
	v_lshlrev_b32_sdwa v3, v8, v65 dst_sel:DWORD dst_unused:UNUSED_PAD src0_sel:DWORD src1_sel:BYTE_0
	v_add3_u32 v62, 0, v2, v3
	v_mul_u32_u24_e32 v2, 0x1e0, v66
	v_lshlrev_b32_e32 v3, 3, v67
	ds_write2_b64 v62, v[115:116], v[147:148] offset1:10
	ds_write2_b64 v62, v[157:158], v[4:5] offset0:20 offset1:30
	ds_write2_b64 v62, v[74:75], v[56:57] offset0:40 offset1:50
	v_add3_u32 v4, 0, v2, v3
	v_mul_u32_u24_e32 v2, 0x1e0, v68
	v_lshlrev_b32_e32 v3, 3, v69
	v_add3_u32 v5, 0, v2, v3
	v_mul_u32_u24_e32 v2, 0x1e0, v70
	v_lshlrev_b32_e32 v3, 3, v71
	ds_write2_b64 v4, v[20:21], v[105:106] offset1:10
	ds_write2_b64 v4, v[117:118], v[30:31] offset0:20 offset1:30
	ds_write2_b64 v4, v[34:35], v[54:55] offset0:40 offset1:50
	ds_write2_b64 v5, v[46:47], v[60:61] offset1:10
	ds_write2_b64 v5, v[95:96], v[6:7] offset0:20 offset1:30
	ds_write2_b64 v5, v[22:23], v[32:33] offset0:40 offset1:50
	v_add3_u32 v6, 0, v2, v3
	ds_write2_b64 v6, v[38:39], v[42:43] offset1:10
	ds_write2_b64 v6, v[93:94], v[18:19] offset0:20 offset1:30
	ds_write2_b64 v6, v[24:25], v[36:37] offset0:40 offset1:50
	v_lshl_add_u32 v93, v137, 3, 0
	v_lshl_add_u32 v20, v139, 3, 0
	v_add_f64 v[113:114], v[179:180], v[44:45]
	v_add_f64 v[159:160], v[179:180], -v[44:45]
	s_waitcnt lgkmcnt(0)
	s_barrier
	ds_read2st64_b64 v[12:15], v86 offset1:30
	ds_read2st64_b64 v[16:19], v86 offset0:32 offset1:34
	ds_read_b64 v[2:3], v91
	ds_read_b64 v[58:59], v92
	ds_read2st64_b64 v[34:37], v86 offset0:36 offset1:38
	ds_read_b64 v[179:180], v87
	ds_read2st64_b64 v[38:41], v86 offset0:40 offset1:42
	v_lshl_add_u32 v94, v127, 3, 0
	ds_read2st64_b64 v[42:45], v86 offset0:44 offset1:46
	v_lshl_add_u32 v60, v132, 3, 0
	v_lshl_add_u32 v61, v124, 3, 0
	ds_read_b64 v[181:182], v93
	ds_read_b64 v[183:184], v94
	;; [unrolled: 1-line block ×4, first 2 shown]
	ds_read2st64_b64 v[46:49], v86 offset0:48 offset1:50
	ds_read_b64 v[193:194], v89
	ds_read_b64 v[195:196], v88
	;; [unrolled: 1-line block ×3, first 2 shown]
	ds_read2st64_b64 v[50:53], v86 offset0:52 offset1:54
	v_lshl_add_u32 v21, v125, 3, 0
	v_lshl_add_u32 v32, v133, 3, 0
	ds_read2st64_b64 v[54:57], v86 offset0:56 offset1:58
	v_lshl_add_u32 v33, v142, 3, 0
	ds_read_b64 v[199:200], v20
	ds_read_b64 v[201:202], v21
	;; [unrolled: 1-line block ×4, first 2 shown]
	s_waitcnt lgkmcnt(0)
	s_barrier
	ds_write2_b64 v11, v[169:170], v[173:174] offset1:10
	ds_write2_b64 v11, v[177:178], v[82:83] offset0:20 offset1:30
	ds_write2_b64 v11, v[78:79], v[109:110] offset0:40 offset1:50
	ds_write2_b64 v62, v[161:162], v[165:166] offset1:10
	ds_write2_b64 v62, v[171:172], v[101:102] offset0:20 offset1:30
	ds_write2_b64 v62, v[80:81], v[103:104] offset0:40 offset1:50
	;; [unrolled: 3-line block ×5, first 2 shown]
	s_movk_i32 s0, 0x89
	v_mul_lo_u16_e32 v4, 0x89, v0
	v_lshrrev_b16_e32 v24, 13, v4
	v_mul_lo_u16_sdwa v10, v130, s0 dst_sel:DWORD dst_unused:UNUSED_PAD src0_sel:BYTE_0 src1_sel:DWORD
	v_mul_lo_u16_e32 v4, 60, v24
	v_lshrrev_b16_e32 v121, 13, v10
	v_sub_u16_e32 v31, v0, v4
	v_mul_lo_u16_e32 v4, 60, v121
	s_mov_b32 s0, 0x8889
	v_mov_b32_e32 v9, 4
	v_sub_u16_e32 v126, v130, v4
	v_mul_u32_u24_sdwa v11, v135, s0 dst_sel:DWORD dst_unused:UNUSED_PAD src0_sel:WORD_0 src1_sel:DWORD
	v_lshlrev_b32_sdwa v4, v9, v126 dst_sel:DWORD dst_unused:UNUSED_PAD src0_sel:DWORD src1_sel:BYTE_0
	v_lshrrev_b32_e32 v128, 21, v11
	s_waitcnt lgkmcnt(0)
	s_barrier
	global_load_dwordx4 v[62:65], v4, s[8:9] offset:800
	v_mul_lo_u16_e32 v4, 60, v128
	v_sub_u16_e32 v134, v135, v4
	v_mul_u32_u24_sdwa v4, v140, s0 dst_sel:DWORD dst_unused:UNUSED_PAD src0_sel:WORD_0 src1_sel:DWORD
	v_lshrrev_b32_e32 v217, 21, v4
	v_mul_lo_u16_e32 v6, 60, v217
	v_lshlrev_b32_e32 v5, 4, v134
	v_sub_u16_e32 v218, v140, v6
	v_lshlrev_b32_e32 v6, 4, v218
	global_load_dwordx4 v[66:69], v5, s[8:9] offset:800
	global_load_dwordx4 v[70:73], v6, s[8:9] offset:800
	v_mul_u32_u24_sdwa v5, v143, s0 dst_sel:DWORD dst_unused:UNUSED_PAD src0_sel:WORD_0 src1_sel:DWORD
	v_lshrrev_b32_e32 v219, 21, v5
	v_mul_lo_u16_e32 v6, 60, v219
	v_sub_u16_e32 v220, v143, v6
	v_mul_u32_u24_sdwa v6, v145, s0 dst_sel:DWORD dst_unused:UNUSED_PAD src0_sel:WORD_0 src1_sel:DWORD
	v_lshrrev_b32_e32 v221, 21, v6
	v_mul_lo_u16_e32 v22, 60, v221
	v_lshlrev_b32_e32 v7, 4, v220
	v_sub_u16_e32 v222, v145, v22
	v_lshlrev_b32_e32 v22, 4, v222
	global_load_dwordx4 v[74:77], v7, s[8:9] offset:800
	global_load_dwordx4 v[78:81], v22, s[8:9] offset:800
	v_mul_u32_u24_sdwa v7, v137, s0 dst_sel:DWORD dst_unused:UNUSED_PAD src0_sel:WORD_0 src1_sel:DWORD
	v_lshrrev_b32_e32 v223, 21, v7
	v_mul_lo_u16_e32 v22, 60, v223
	v_sub_u16_e32 v224, v137, v22
	v_lshlrev_b32_e32 v22, 4, v224
	global_load_dwordx4 v[95:98], v22, s[8:9] offset:800
	v_lshlrev_b32_sdwa v22, v9, v31 dst_sel:DWORD dst_unused:UNUSED_PAD src0_sel:DWORD src1_sel:BYTE_0
	global_load_dwordx4 v[99:102], v22, s[8:9] offset:800
	v_mul_u32_u24_sdwa v22, v127, s0 dst_sel:DWORD dst_unused:UNUSED_PAD src0_sel:WORD_0 src1_sel:DWORD
	v_lshrrev_b32_e32 v225, 21, v22
	v_mul_lo_u16_e32 v23, 60, v225
	v_sub_u16_e32 v226, v127, v23
	v_lshlrev_b32_e32 v23, 4, v226
	global_load_dwordx4 v[103:106], v23, s[8:9] offset:800
	v_mul_u32_u24_sdwa v30, v132, s0 dst_sel:DWORD dst_unused:UNUSED_PAD src0_sel:WORD_0 src1_sel:DWORD
	v_lshrrev_b32_e32 v227, 21, v30
	v_mul_lo_u16_e32 v23, 60, v227
	v_sub_u16_e32 v228, v132, v23
	v_mul_u32_u24_sdwa v29, v124, s0 dst_sel:DWORD dst_unused:UNUSED_PAD src0_sel:WORD_0 src1_sel:DWORD
	v_lshlrev_b32_e32 v23, 4, v228
	v_lshrrev_b32_e32 v229, 21, v29
	global_load_dwordx4 v[107:110], v23, s[8:9] offset:800
	v_mul_lo_u16_e32 v23, 60, v229
	v_sub_u16_e32 v230, v124, v23
	v_lshlrev_b32_e32 v23, 4, v230
	v_mul_u32_u24_sdwa v28, v129, s0 dst_sel:DWORD dst_unused:UNUSED_PAD src0_sel:WORD_0 src1_sel:DWORD
	global_load_dwordx4 v[111:114], v23, s[8:9] offset:800
	v_lshrrev_b32_e32 v231, 21, v28
	v_mul_lo_u16_e32 v23, 60, v231
	v_sub_u16_e32 v232, v129, v23
	v_mul_u32_u24_sdwa v23, v139, s0 dst_sel:DWORD dst_unused:UNUSED_PAD src0_sel:WORD_0 src1_sel:DWORD
	v_lshlrev_b32_e32 v25, 4, v232
	v_lshrrev_b32_e32 v233, 21, v23
	global_load_dwordx4 v[115:118], v25, s[8:9] offset:800
	v_mul_lo_u16_e32 v25, 60, v233
	v_sub_u16_e32 v234, v139, v25
	v_mul_u32_u24_sdwa v27, v125, s0 dst_sel:DWORD dst_unused:UNUSED_PAD src0_sel:WORD_0 src1_sel:DWORD
	v_lshlrev_b32_e32 v25, 4, v234
	v_lshrrev_b32_e32 v235, 21, v27
	v_mul_u32_u24_sdwa v26, v133, s0 dst_sel:DWORD dst_unused:UNUSED_PAD src0_sel:WORD_0 src1_sel:DWORD
	global_load_dwordx4 v[147:150], v25, s[8:9] offset:800
	v_mul_lo_u16_e32 v25, 60, v235
	v_lshrrev_b32_e32 v237, 21, v26
	v_sub_u16_e32 v236, v125, v25
	v_mul_lo_u16_e32 v82, 60, v237
	v_lshlrev_b32_e32 v25, 4, v236
	v_sub_u16_e32 v238, v133, v82
	global_load_dwordx4 v[151:154], v25, s[8:9] offset:800
	v_lshlrev_b32_e32 v25, 4, v238
	global_load_dwordx4 v[155:158], v25, s[8:9] offset:800
	v_mul_u32_u24_sdwa v25, v142, s0 dst_sel:DWORD dst_unused:UNUSED_PAD src0_sel:WORD_0 src1_sel:DWORD
	v_lshrrev_b32_e32 v239, 21, v25
	v_mul_lo_u16_e32 v82, 60, v239
	v_sub_u16_e32 v240, v142, v82
	v_lshlrev_b32_e32 v82, 4, v240
	global_load_dwordx4 v[159:162], v82, s[8:9] offset:800
	ds_read2st64_b64 v[163:166], v86 offset0:32 offset1:34
	ds_read2st64_b64 v[167:170], v86 offset1:30
	ds_read_b64 v[82:83], v91
	ds_read_b64 v[119:120], v92
	ds_read2st64_b64 v[171:174], v86 offset0:36 offset1:38
	ds_read2st64_b64 v[175:178], v86 offset0:40 offset1:42
	ds_read_b64 v[187:188], v87
	s_waitcnt vmcnt(14) lgkmcnt(6)
	v_mul_f64 v[185:186], v[163:164], v[64:65]
	v_mul_f64 v[64:65], v[16:17], v[64:65]
	v_mul_u32_u24_e32 v24, 0x3c0, v24
	v_lshlrev_b32_sdwa v31, v8, v31 dst_sel:DWORD dst_unused:UNUSED_PAD src0_sel:DWORD src1_sel:BYTE_0
	v_add3_u32 v24, 0, v24, v31
	s_movk_i32 s0, 0x78
	v_cmp_gt_u32_e64 s[0:1], s0, v0
	s_movk_i32 s5, 0x1e0
	s_waitcnt vmcnt(13)
	v_mul_f64 v[207:208], v[165:166], v[68:69]
	v_mul_f64 v[68:69], v[18:19], v[68:69]
	s_waitcnt vmcnt(12) lgkmcnt(2)
	v_mul_f64 v[209:210], v[171:172], v[72:73]
	v_mul_f64 v[72:73], v[34:35], v[72:73]
	v_fma_f64 v[185:186], v[16:17], v[62:63], -v[185:186]
	v_fma_f64 v[163:164], v[163:164], v[62:63], v[64:65]
	ds_read2st64_b64 v[62:65], v86 offset0:44 offset1:46
	s_movk_i32 s4, 0x3c0
	v_fma_f64 v[207:208], v[18:19], v[66:67], -v[207:208]
	v_fma_f64 v[66:67], v[165:166], v[66:67], v[68:69]
	v_fma_f64 v[68:69], v[34:35], v[70:71], -v[209:210]
	v_fma_f64 v[70:71], v[171:172], v[70:71], v[72:73]
	s_waitcnt vmcnt(11)
	v_mul_f64 v[16:17], v[173:174], v[76:77]
	v_mul_f64 v[34:35], v[36:37], v[76:77]
	s_waitcnt vmcnt(10) lgkmcnt(2)
	v_mul_f64 v[72:73], v[175:176], v[80:81]
	v_mul_f64 v[76:77], v[38:39], v[80:81]
	ds_read_b64 v[165:166], v93
	ds_read_b64 v[171:172], v94
	;; [unrolled: 1-line block ×4, first 2 shown]
	v_add_f64 v[66:67], v[119:120], -v[66:67]
	s_waitcnt vmcnt(9)
	v_mul_f64 v[80:81], v[177:178], v[97:98]
	v_add_f64 v[68:69], v[195:196], -v[68:69]
	v_fma_f64 v[213:214], v[36:37], v[74:75], -v[16:17]
	v_fma_f64 v[74:75], v[173:174], v[74:75], v[34:35]
	v_fma_f64 v[72:73], v[38:39], v[78:79], -v[72:73]
	v_fma_f64 v[76:77], v[175:176], v[78:79], v[76:77]
	v_mul_f64 v[34:35], v[40:41], v[97:98]
	ds_read2st64_b64 v[16:19], v86 offset0:48 offset1:50
	v_fma_f64 v[78:79], v[40:41], v[95:96], -v[80:81]
	s_waitcnt vmcnt(7) lgkmcnt(5)
	v_mul_f64 v[80:81], v[62:63], v[105:106]
	v_mul_f64 v[97:98], v[42:43], v[105:106]
	ds_read_b64 v[173:174], v89
	ds_read_b64 v[175:176], v88
	;; [unrolled: 1-line block ×3, first 2 shown]
	v_add_f64 v[72:73], v[179:180], -v[72:73]
	v_add_f64 v[76:77], v[187:188], -v[76:77]
	v_fma_f64 v[95:96], v[177:178], v[95:96], v[34:35]
	v_mul_f64 v[177:178], v[169:170], v[101:102]
	s_waitcnt vmcnt(6)
	v_mul_f64 v[105:106], v[64:65], v[109:110]
	v_fma_f64 v[42:43], v[42:43], v[103:104], -v[80:81]
	v_fma_f64 v[62:63], v[62:63], v[103:104], v[97:98]
	ds_read2st64_b64 v[34:37], v86 offset0:52 offset1:54
	ds_read2st64_b64 v[38:41], v86 offset0:56 offset1:58
	v_mul_f64 v[109:110], v[44:45], v[109:110]
	s_waitcnt vmcnt(5) lgkmcnt(5)
	v_mul_f64 v[80:81], v[16:17], v[113:114]
	v_mul_f64 v[97:98], v[46:47], v[113:114]
	s_waitcnt lgkmcnt(3)
	v_add_f64 v[70:71], v[175:176], -v[70:71]
	v_fma_f64 v[44:45], v[44:45], v[107:108], -v[105:106]
	v_add_f64 v[78:79], v[181:182], -v[78:79]
	v_add_f64 v[42:43], v[183:184], -v[42:43]
	;; [unrolled: 1-line block ×3, first 2 shown]
	s_waitcnt vmcnt(4)
	v_mul_f64 v[105:106], v[48:49], v[117:118]
	v_mul_f64 v[103:104], v[18:19], v[117:118]
	v_fma_f64 v[46:47], v[46:47], v[111:112], -v[80:81]
	v_fma_f64 v[16:17], v[16:17], v[111:112], v[97:98]
	v_mul_f64 v[80:81], v[14:15], v[101:102]
	v_fma_f64 v[14:15], v[14:15], v[99:100], -v[177:178]
	v_fma_f64 v[64:65], v[64:65], v[107:108], v[109:110]
	s_waitcnt vmcnt(3) lgkmcnt(1)
	v_mul_f64 v[97:98], v[34:35], v[149:150]
	v_mul_f64 v[101:102], v[50:51], v[149:150]
	v_fma_f64 v[18:19], v[18:19], v[115:116], v[105:106]
	v_fma_f64 v[48:49], v[48:49], v[115:116], -v[103:104]
	ds_read_b64 v[107:108], v20
	ds_read_b64 v[109:110], v21
	;; [unrolled: 1-line block ×4, first 2 shown]
	v_fma_f64 v[80:81], v[169:170], v[99:100], v[80:81]
	v_add_f64 v[14:15], v[12:13], -v[14:15]
	s_waitcnt vmcnt(2)
	v_mul_f64 v[105:106], v[52:53], v[153:154]
	v_mul_f64 v[103:104], v[36:37], v[153:154]
	s_waitcnt vmcnt(1) lgkmcnt(4)
	v_mul_f64 v[111:112], v[38:39], v[157:158]
	v_mul_f64 v[115:116], v[54:55], v[157:158]
	v_fma_f64 v[50:51], v[50:51], v[147:148], -v[97:98]
	v_fma_f64 v[34:35], v[34:35], v[147:148], v[101:102]
	v_add_f64 v[101:102], v[2:3], -v[185:186]
	v_fma_f64 v[12:13], v[12:13], 2.0, -v[14:15]
	s_waitcnt vmcnt(0)
	v_mul_f64 v[97:98], v[40:41], v[161:162]
	v_fma_f64 v[36:37], v[36:37], v[151:152], v[105:106]
	v_add_f64 v[105:106], v[58:59], -v[207:208]
	v_fma_f64 v[54:55], v[54:55], v[155:156], -v[111:112]
	v_add_f64 v[111:112], v[193:194], -v[213:214]
	v_fma_f64 v[52:53], v[52:53], v[151:152], -v[103:104]
	v_fma_f64 v[38:39], v[38:39], v[155:156], v[115:116]
	v_mul_f64 v[99:100], v[56:57], v[161:162]
	v_fma_f64 v[56:57], v[56:57], v[159:160], -v[97:98]
	v_fma_f64 v[2:3], v[2:3], 2.0, -v[101:102]
	v_fma_f64 v[58:59], v[58:59], 2.0, -v[105:106]
	;; [unrolled: 1-line block ×5, first 2 shown]
	v_add_f64 v[80:81], v[167:168], -v[80:81]
	v_fma_f64 v[40:41], v[40:41], v[159:160], v[99:100]
	v_fma_f64 v[99:100], v[119:120], 2.0, -v[66:67]
	v_fma_f64 v[119:120], v[175:176], 2.0, -v[70:71]
	v_add_f64 v[44:45], v[189:190], -v[44:45]
	v_add_f64 v[46:47], v[191:192], -v[46:47]
	;; [unrolled: 1-line block ×5, first 2 shown]
	s_waitcnt lgkmcnt(3)
	v_add_f64 v[175:176], v[107:108], -v[34:35]
	v_add_f64 v[34:35], v[201:202], -v[52:53]
	s_waitcnt lgkmcnt(2)
	v_add_f64 v[177:178], v[109:110], -v[36:37]
	v_add_f64 v[36:37], v[203:204], -v[54:55]
	;; [unrolled: 3-line block ×3, first 2 shown]
	s_waitcnt lgkmcnt(0)
	s_barrier
	ds_write2_b64 v24, v[12:13], v[14:15] offset1:60
	v_mul_u32_u24_e32 v12, 0x3c0, v121
	v_lshlrev_b32_sdwa v13, v8, v126 dst_sel:DWORD dst_unused:UNUSED_PAD src0_sel:DWORD src1_sel:BYTE_0
	v_add_f64 v[103:104], v[82:83], -v[163:164]
	v_fma_f64 v[155:156], v[181:182], 2.0, -v[78:79]
	v_add3_u32 v31, 0, v12, v13
	ds_write2_b64 v31, v[2:3], v[101:102] offset1:60
	v_mul_u32_u24_e32 v2, 0x3c0, v128
	v_lshlrev_b32_e32 v3, 3, v134
	v_add3_u32 v2, 0, v2, v3
	v_mul_u32_u24_e32 v3, 0x3c0, v217
	v_lshlrev_b32_e32 v12, 3, v218
	v_add_f64 v[74:75], v[173:174], -v[74:75]
	v_add3_u32 v3, 0, v3, v12
	v_mul_u32_u24_e32 v12, 0x3c0, v219
	v_lshlrev_b32_e32 v13, 3, v220
	ds_write2_b64 v2, v[58:59], v[105:106] offset1:60
	ds_write2_b64 v3, v[115:116], v[68:69] offset1:60
	v_add3_u32 v68, 0, v12, v13
	v_mul_u32_u24_e32 v12, 0x3c0, v221
	v_lshlrev_b32_e32 v13, 3, v222
	v_add_f64 v[95:96], v[165:166], -v[95:96]
	v_add3_u32 v69, 0, v12, v13
	v_mul_u32_u24_e32 v12, 0x3c0, v223
	v_lshlrev_b32_e32 v13, 3, v224
	ds_write2_b64 v68, v[147:148], v[111:112] offset1:60
	ds_write2_b64 v69, v[151:152], v[72:73] offset1:60
	v_add3_u32 v72, 0, v12, v13
	v_mul_u32_u24_e32 v12, 0x3c0, v225
	v_lshlrev_b32_e32 v13, 3, v226
	v_fma_f64 v[97:98], v[167:168], 2.0, -v[80:81]
	v_add_f64 v[64:65], v[209:210], -v[64:65]
	v_add_f64 v[161:162], v[215:216], -v[18:19]
	v_fma_f64 v[18:19], v[183:184], 2.0, -v[42:43]
	v_fma_f64 v[163:164], v[171:172], 2.0, -v[62:63]
	v_fma_f64 v[48:49], v[189:190], 2.0, -v[44:45]
	v_fma_f64 v[167:168], v[191:192], 2.0, -v[46:47]
	v_fma_f64 v[171:172], v[197:198], 2.0, -v[16:17]
	v_add_f64 v[181:182], v[117:118], -v[40:41]
	v_fma_f64 v[40:41], v[199:200], 2.0, -v[50:51]
	v_fma_f64 v[52:53], v[201:202], 2.0, -v[34:35]
	;; [unrolled: 1-line block ×4, first 2 shown]
	v_add3_u32 v73, 0, v12, v13
	v_mul_u32_u24_e32 v12, 0x3c0, v227
	v_lshlrev_b32_e32 v13, 3, v228
	v_fma_f64 v[82:83], v[82:83], 2.0, -v[103:104]
	ds_write2_b64 v72, v[155:156], v[78:79] offset1:60
	v_add3_u32 v78, 0, v12, v13
	v_mul_u32_u24_e32 v12, 0x3c0, v229
	v_lshlrev_b32_e32 v13, 3, v230
	v_add3_u32 v79, 0, v12, v13
	v_mul_u32_u24_e32 v12, 0x3c0, v231
	v_lshlrev_b32_e32 v13, 3, v232
	;; [unrolled: 3-line block ×3, first 2 shown]
	v_fma_f64 v[149:150], v[173:174], 2.0, -v[74:75]
	v_add3_u32 v102, 0, v12, v13
	v_mul_u32_u24_e32 v12, 0x3c0, v235
	v_lshlrev_b32_e32 v13, 3, v236
	v_fma_f64 v[153:154], v[187:188], 2.0, -v[76:77]
	v_add3_u32 v105, 0, v12, v13
	v_mul_u32_u24_e32 v12, 0x3c0, v237
	v_lshlrev_b32_e32 v13, 3, v238
	;; [unrolled: 4-line block ×3, first 2 shown]
	v_add3_u32 v111, 0, v12, v13
	v_fma_f64 v[165:166], v[209:210], 2.0, -v[64:65]
	v_fma_f64 v[169:170], v[211:212], 2.0, -v[159:160]
	v_fma_f64 v[173:174], v[215:216], 2.0, -v[161:162]
	v_fma_f64 v[107:108], v[107:108], 2.0, -v[175:176]
	v_fma_f64 v[109:110], v[109:110], 2.0, -v[177:178]
	v_fma_f64 v[113:114], v[113:114], 2.0, -v[179:180]
	v_fma_f64 v[117:118], v[117:118], 2.0, -v[181:182]
	ds_write2_b64 v73, v[18:19], v[42:43] offset1:60
	ds_write2_b64 v78, v[48:49], v[44:45] offset1:60
	;; [unrolled: 1-line block ×8, first 2 shown]
	s_waitcnt lgkmcnt(0)
	s_barrier
	ds_read2st64_b64 v[12:15], v86 offset1:30
	ds_read2st64_b64 v[16:19], v86 offset0:32 offset1:34
	ds_read_b64 v[58:59], v91
	ds_read_b64 v[183:184], v92
	ds_read2st64_b64 v[34:37], v86 offset0:36 offset1:38
	ds_read_b64 v[185:186], v87
	ds_read2st64_b64 v[38:41], v86 offset0:40 offset1:42
	ds_read2st64_b64 v[42:45], v86 offset0:44 offset1:46
	ds_read_b64 v[187:188], v93
	ds_read_b64 v[189:190], v94
	;; [unrolled: 1-line block ×4, first 2 shown]
	ds_read2st64_b64 v[46:49], v86 offset0:48 offset1:50
	ds_read_b64 v[195:196], v89
	ds_read_b64 v[197:198], v88
	;; [unrolled: 1-line block ×3, first 2 shown]
	ds_read2st64_b64 v[50:53], v86 offset0:52 offset1:54
	ds_read2st64_b64 v[54:57], v86 offset0:56 offset1:58
	ds_read_b64 v[201:202], v20
	ds_read_b64 v[203:204], v21
	;; [unrolled: 1-line block ×4, first 2 shown]
	s_waitcnt lgkmcnt(0)
	s_barrier
	ds_write2_b64 v24, v[97:98], v[80:81] offset1:60
	ds_write2_b64 v31, v[82:83], v[103:104] offset1:60
	;; [unrolled: 1-line block ×15, first 2 shown]
	v_lshrrev_b16_e32 v31, 14, v10
	v_mul_lo_u16_e32 v10, 0x78, v31
	v_sub_u16_e32 v121, v130, v10
	v_lshlrev_b32_sdwa v9, v9, v121 dst_sel:DWORD dst_unused:UNUSED_PAD src0_sel:DWORD src1_sel:BYTE_0
	v_lshrrev_b32_e32 v126, 22, v11
	s_waitcnt lgkmcnt(0)
	s_barrier
	global_load_dwordx4 v[62:65], v9, s[8:9] offset:1760
	v_mul_lo_u16_e32 v9, 0x78, v126
	v_sub_u16_e32 v128, v135, v9
	v_lshlrev_b32_e32 v9, 4, v128
	global_load_dwordx4 v[66:69], v9, s[8:9] offset:1760
	v_lshrrev_b32_e32 v134, 22, v4
	v_mul_lo_u16_e32 v9, 0x78, v134
	v_sub_u16_e32 v219, v140, v9
	v_add_u32_e32 v2, 0xffffff88, v0
	v_lshlrev_b32_e32 v9, 4, v219
	v_lshrrev_b32_e32 v220, 22, v5
	v_cndmask_b32_e64 v2, v2, v0, s[0:1]
	v_mov_b32_e32 v3, 0
	global_load_dwordx4 v[70:73], v9, s[8:9] offset:1760
	v_mul_lo_u16_e32 v9, 0x78, v220
	v_lshlrev_b64 v[78:79], 4, v[2:3]
	v_sub_u16_e32 v221, v143, v9
	v_lshlrev_b32_e32 v9, 4, v221
	v_mov_b32_e32 v24, s9
	global_load_dwordx4 v[74:77], v9, s[8:9] offset:1760
	v_add_co_u32_e64 v9, s[0:1], s8, v78
	v_addc_co_u32_e64 v10, s[0:1], v24, v79, s[0:1]
	v_lshrrev_b32_e32 v222, 22, v6
	global_load_dwordx4 v[78:81], v[9:10], off offset:1760
	v_mul_lo_u16_e32 v9, 0x78, v222
	v_sub_u16_e32 v223, v145, v9
	v_lshlrev_b32_e32 v9, 4, v223
	v_lshrrev_b32_e32 v224, 22, v7
	global_load_dwordx4 v[95:98], v9, s[8:9] offset:1760
	v_mul_lo_u16_e32 v9, 0x78, v224
	v_sub_u16_e32 v225, v137, v9
	v_lshlrev_b32_e32 v9, 4, v225
	global_load_dwordx4 v[99:102], v9, s[8:9] offset:1760
	v_lshrrev_b32_e32 v226, 22, v22
	v_mul_lo_u16_e32 v10, 0x78, v226
	v_sub_u16_e32 v227, v127, v10
	v_lshlrev_b32_e32 v9, 4, v227
	v_lshrrev_b32_e32 v228, 22, v30
	global_load_dwordx4 v[103:106], v9, s[8:9] offset:1760
	v_mul_lo_u16_e32 v9, 0x78, v228
	v_lshrrev_b32_e32 v230, 22, v29
	v_sub_u16_e32 v229, v132, v9
	v_mul_lo_u16_e32 v10, 0x78, v230
	v_lshlrev_b32_e32 v9, 4, v229
	v_sub_u16_e32 v231, v124, v10
	v_lshrrev_b32_e32 v232, 22, v28
	v_lshlrev_b32_e32 v10, 4, v231
	global_load_dwordx4 v[107:110], v9, s[8:9] offset:1760
	global_load_dwordx4 v[111:114], v10, s[8:9] offset:1760
	v_mul_lo_u16_e32 v9, 0x78, v232
	v_sub_u16_e32 v233, v129, v9
	v_lshlrev_b32_e32 v9, 4, v233
	v_lshrrev_b32_e32 v234, 22, v23
	global_load_dwordx4 v[115:118], v9, s[8:9] offset:1760
	v_mul_lo_u16_e32 v9, 0x78, v234
	v_sub_u16_e32 v235, v139, v9
	v_lshlrev_b32_e32 v9, 4, v235
	v_lshrrev_b32_e32 v236, 22, v27
	global_load_dwordx4 v[147:150], v9, s[8:9] offset:1760
	v_mul_lo_u16_e32 v9, 0x78, v236
	v_lshrrev_b32_e32 v238, 22, v26
	v_sub_u16_e32 v237, v125, v9
	v_mul_lo_u16_e32 v10, 0x78, v238
	v_lshlrev_b32_e32 v9, 4, v237
	v_sub_u16_e32 v239, v133, v10
	global_load_dwordx4 v[151:154], v9, s[8:9] offset:1760
	v_lshlrev_b32_e32 v9, 4, v239
	global_load_dwordx4 v[155:158], v9, s[8:9] offset:1760
	v_lshrrev_b32_e32 v240, 22, v25
	v_mul_lo_u16_e32 v9, 0x78, v240
	v_sub_u16_e32 v241, v142, v9
	v_lshlrev_b32_e32 v9, 4, v241
	global_load_dwordx4 v[159:162], v9, s[8:9] offset:1760
	ds_read2st64_b64 v[163:166], v86 offset0:32 offset1:34
	ds_read2st64_b64 v[167:170], v86 offset1:30
	ds_read_b64 v[9:10], v91
	ds_read_b64 v[82:83], v92
	ds_read2st64_b64 v[171:174], v86 offset0:36 offset1:38
	ds_read_b64 v[211:212], v87
	ds_read2st64_b64 v[175:178], v86 offset0:40 offset1:42
	ds_read2st64_b64 v[179:182], v86 offset0:44 offset1:46
	s_movk_i32 s0, 0x77
	v_cmp_lt_u32_e64 s[0:1], s0, v0
	v_lshlrev_b32_e32 v2, 3, v2
	v_lshlrev_b32_sdwa v8, v8, v121 dst_sel:DWORD dst_unused:UNUSED_PAD src0_sel:DWORD src1_sel:BYTE_0
	s_waitcnt vmcnt(14) lgkmcnt(7)
	v_mul_f64 v[119:120], v[163:164], v[64:65]
	v_mul_f64 v[64:65], v[16:17], v[64:65]
	s_waitcnt vmcnt(13)
	v_mul_f64 v[209:210], v[165:166], v[68:69]
	v_mul_f64 v[68:69], v[18:19], v[68:69]
	v_fma_f64 v[119:120], v[16:17], v[62:63], -v[119:120]
	v_fma_f64 v[62:63], v[163:164], v[62:63], v[64:65]
	v_fma_f64 v[64:65], v[18:19], v[66:67], -v[209:210]
	v_fma_f64 v[66:67], v[165:166], v[66:67], v[68:69]
	s_waitcnt vmcnt(12) lgkmcnt(3)
	v_mul_f64 v[68:69], v[171:172], v[72:73]
	v_mul_f64 v[72:73], v[34:35], v[72:73]
	ds_read_b64 v[165:166], v93
	ds_read_b64 v[209:210], v94
	;; [unrolled: 1-line block ×4, first 2 shown]
	ds_read2st64_b64 v[16:19], v86 offset0:48 offset1:50
	v_add_f64 v[62:63], v[9:10], -v[62:63]
	s_waitcnt vmcnt(11)
	v_mul_f64 v[163:164], v[173:174], v[76:77]
	v_mul_f64 v[76:77], v[36:37], v[76:77]
	v_add_f64 v[64:65], v[183:184], -v[64:65]
	v_fma_f64 v[68:69], v[34:35], v[70:71], -v[68:69]
	v_fma_f64 v[70:71], v[171:172], v[70:71], v[72:73]
	v_add_f64 v[66:67], v[82:83], -v[66:67]
	s_waitcnt vmcnt(10)
	v_mul_f64 v[34:35], v[169:170], v[80:81]
	v_mul_f64 v[72:73], v[14:15], v[80:81]
	v_fma_f64 v[80:81], v[36:37], v[74:75], -v[163:164]
	v_fma_f64 v[74:75], v[173:174], v[74:75], v[76:77]
	ds_read_b64 v[171:172], v89
	ds_read_b64 v[173:174], v88
	;; [unrolled: 1-line block ×3, first 2 shown]
	s_waitcnt vmcnt(9) lgkmcnt(9)
	v_mul_f64 v[76:77], v[175:176], v[97:98]
	v_mul_f64 v[97:98], v[38:39], v[97:98]
	v_add_f64 v[68:69], v[197:198], -v[68:69]
	v_fma_f64 v[14:15], v[14:15], v[78:79], -v[34:35]
	s_waitcnt vmcnt(8)
	v_mul_f64 v[163:164], v[177:178], v[101:102]
	v_mul_f64 v[101:102], v[40:41], v[101:102]
	v_fma_f64 v[72:73], v[169:170], v[78:79], v[72:73]
	ds_read2st64_b64 v[34:37], v86 offset0:52 offset1:54
	v_fma_f64 v[76:77], v[38:39], v[95:96], -v[76:77]
	v_fma_f64 v[78:79], v[175:176], v[95:96], v[97:98]
	s_waitcnt vmcnt(7) lgkmcnt(9)
	v_mul_f64 v[38:39], v[179:180], v[105:106]
	v_add_f64 v[14:15], v[12:13], -v[14:15]
	v_fma_f64 v[95:96], v[40:41], v[99:100], -v[163:164]
	v_mul_f64 v[40:41], v[42:43], v[105:106]
	v_fma_f64 v[97:98], v[177:178], v[99:100], v[101:102]
	v_add_f64 v[80:81], v[195:196], -v[80:81]
	v_add_f64 v[76:77], v[185:186], -v[76:77]
	;; [unrolled: 1-line block ×3, first 2 shown]
	s_waitcnt vmcnt(6)
	v_mul_f64 v[99:100], v[181:182], v[109:110]
	v_mul_f64 v[101:102], v[44:45], v[109:110]
	s_waitcnt vmcnt(5) lgkmcnt(4)
	v_mul_f64 v[105:106], v[16:17], v[113:114]
	v_mul_f64 v[109:110], v[46:47], v[113:114]
	v_fma_f64 v[42:43], v[42:43], v[103:104], -v[38:39]
	v_fma_f64 v[103:104], v[179:180], v[103:104], v[40:41]
	s_waitcnt vmcnt(4)
	v_mul_f64 v[113:114], v[18:19], v[117:118]
	ds_read2st64_b64 v[38:41], v86 offset0:56 offset1:58
	v_fma_f64 v[44:45], v[44:45], v[107:108], -v[99:100]
	v_fma_f64 v[99:100], v[181:182], v[107:108], v[101:102]
	v_fma_f64 v[46:47], v[46:47], v[111:112], -v[105:106]
	v_fma_f64 v[16:17], v[16:17], v[111:112], v[109:110]
	s_waitcnt vmcnt(3) lgkmcnt(1)
	v_mul_f64 v[105:106], v[34:35], v[149:150]
	v_mul_f64 v[107:108], v[50:51], v[149:150]
	v_fma_f64 v[101:102], v[48:49], v[115:116], -v[113:114]
	v_mul_f64 v[48:49], v[48:49], v[117:118]
	v_fma_f64 v[11:12], v[12:13], 2.0, -v[14:15]
	v_add_f64 v[95:96], v[187:188], -v[95:96]
	s_waitcnt vmcnt(2)
	v_mul_f64 v[109:110], v[36:37], v[153:154]
	v_mul_f64 v[111:112], v[52:53], v[153:154]
	s_waitcnt vmcnt(1) lgkmcnt(0)
	v_mul_f64 v[113:114], v[38:39], v[157:158]
	v_mul_f64 v[117:118], v[54:55], v[157:158]
	v_fma_f64 v[34:35], v[34:35], v[147:148], v[107:108]
	v_fma_f64 v[18:19], v[18:19], v[115:116], v[48:49]
	v_fma_f64 v[48:49], v[50:51], v[147:148], -v[105:106]
	v_add_f64 v[107:108], v[58:59], -v[119:120]
	v_fma_f64 v[50:51], v[52:53], v[151:152], -v[109:110]
	s_waitcnt vmcnt(0)
	v_mul_f64 v[105:106], v[56:57], v[161:162]
	v_fma_f64 v[52:53], v[54:55], v[155:156], -v[113:114]
	v_mul_f64 v[54:55], v[40:41], v[161:162]
	v_fma_f64 v[36:37], v[36:37], v[151:152], v[111:112]
	v_fma_f64 v[38:39], v[38:39], v[155:156], v[117:118]
	ds_read_b64 v[149:150], v20
	ds_read_b64 v[153:154], v21
	;; [unrolled: 1-line block ×4, first 2 shown]
	v_fma_f64 v[58:59], v[58:59], 2.0, -v[107:108]
	v_mov_b32_e32 v13, 0x780
	v_fma_f64 v[40:41], v[40:41], v[159:160], v[105:106]
	v_fma_f64 v[105:106], v[9:10], 2.0, -v[62:63]
	v_fma_f64 v[54:55], v[56:57], v[159:160], -v[54:55]
	v_fma_f64 v[9:10], v[183:184], 2.0, -v[64:65]
	v_cndmask_b32_e64 v13, 0, v13, s[0:1]
	v_fma_f64 v[109:110], v[197:198], 2.0, -v[68:69]
	v_add3_u32 v2, 0, v13, v2
	v_add_f64 v[74:75], v[171:172], -v[74:75]
	v_add_f64 v[42:43], v[189:190], -v[42:43]
	v_add_f64 v[44:45], v[191:192], -v[44:45]
	v_add_f64 v[46:47], v[193:194], -v[46:47]
	v_add_f64 v[155:156], v[215:216], -v[16:17]
	v_add_f64 v[16:17], v[199:200], -v[101:102]
	v_add_f64 v[48:49], v[201:202], -v[48:49]
	s_waitcnt lgkmcnt(3)
	v_add_f64 v[175:176], v[149:150], -v[34:35]
	v_add_f64 v[34:35], v[203:204], -v[50:51]
	s_waitcnt lgkmcnt(2)
	v_add_f64 v[177:178], v[153:154], -v[36:37]
	v_add_f64 v[36:37], v[205:206], -v[52:53]
	;; [unrolled: 3-line block ×3, first 2 shown]
	s_waitcnt lgkmcnt(0)
	s_barrier
	ds_write2_b64 v2, v[11:12], v[14:15] offset1:120
	v_mul_u32_u24_e32 v11, 0x780, v31
	v_fma_f64 v[113:114], v[195:196], 2.0, -v[80:81]
	v_fma_f64 v[117:118], v[185:186], 2.0, -v[76:77]
	v_add3_u32 v31, 0, v11, v8
	v_mul_u32_u24_e32 v8, 0x780, v126
	v_lshlrev_b32_e32 v11, 3, v128
	ds_write2_b64 v31, v[58:59], v[107:108] offset1:120
	v_add3_u32 v58, 0, v8, v11
	v_add_f64 v[70:71], v[173:174], -v[70:71]
	ds_write2_b64 v58, v[9:10], v[64:65] offset1:120
	v_mul_u32_u24_e32 v8, 0x780, v134
	v_lshlrev_b32_e32 v9, 3, v219
	v_add3_u32 v59, 0, v8, v9
	v_mul_u32_u24_e32 v8, 0x780, v220
	v_lshlrev_b32_e32 v9, 3, v221
	v_add_f64 v[78:79], v[211:212], -v[78:79]
	v_fma_f64 v[147:148], v[187:188], 2.0, -v[95:96]
	v_add3_u32 v64, 0, v8, v9
	v_mul_u32_u24_e32 v8, 0x780, v222
	v_lshlrev_b32_e32 v9, 3, v223
	v_add_f64 v[97:98], v[165:166], -v[97:98]
	v_add3_u32 v65, 0, v8, v9
	v_mul_u32_u24_e32 v8, 0x780, v224
	v_lshlrev_b32_e32 v9, 3, v225
	v_add_f64 v[103:104], v[209:210], -v[103:104]
	ds_write2_b64 v59, v[109:110], v[68:69] offset1:120
	v_add3_u32 v68, 0, v8, v9
	v_mul_u32_u24_e32 v8, 0x780, v226
	v_lshlrev_b32_e32 v9, 3, v227
	v_fma_f64 v[56:57], v[167:168], 2.0, -v[72:73]
	v_fma_f64 v[115:116], v[171:172], 2.0, -v[74:75]
	v_add_f64 v[99:100], v[213:214], -v[99:100]
	v_add_f64 v[101:102], v[217:218], -v[18:19]
	v_fma_f64 v[18:19], v[189:190], 2.0, -v[42:43]
	v_fma_f64 v[161:162], v[191:192], 2.0, -v[44:45]
	;; [unrolled: 1-line block ×4, first 2 shown]
	v_add_f64 v[54:55], v[163:164], -v[40:41]
	v_fma_f64 v[40:41], v[201:202], 2.0, -v[48:49]
	v_fma_f64 v[50:51], v[203:204], 2.0, -v[34:35]
	;; [unrolled: 1-line block ×4, first 2 shown]
	v_add3_u32 v69, 0, v8, v9
	v_mul_u32_u24_e32 v8, 0x780, v228
	v_lshlrev_b32_e32 v9, 3, v229
	ds_write2_b64 v64, v[113:114], v[80:81] offset1:120
	ds_write2_b64 v65, v[117:118], v[76:77] offset1:120
	v_add3_u32 v76, 0, v8, v9
	v_mul_u32_u24_e32 v8, 0x780, v230
	v_lshlrev_b32_e32 v9, 3, v231
	v_fma_f64 v[82:83], v[82:83], 2.0, -v[66:67]
	v_add3_u32 v77, 0, v8, v9
	v_mul_u32_u24_e32 v8, 0x780, v232
	v_lshlrev_b32_e32 v9, 3, v233
	v_fma_f64 v[111:112], v[173:174], 2.0, -v[70:71]
	v_add3_u32 v80, 0, v8, v9
	v_mul_u32_u24_e32 v8, 0x780, v234
	v_lshlrev_b32_e32 v9, 3, v235
	v_add3_u32 v81, 0, v8, v9
	v_mul_u32_u24_e32 v8, 0x780, v236
	v_lshlrev_b32_e32 v9, 3, v237
	v_fma_f64 v[119:120], v[211:212], 2.0, -v[78:79]
	ds_write2_b64 v68, v[147:148], v[95:96] offset1:120
	v_add3_u32 v95, 0, v8, v9
	v_mul_u32_u24_e32 v8, 0x780, v238
	v_lshlrev_b32_e32 v9, 3, v239
	v_fma_f64 v[151:152], v[165:166], 2.0, -v[97:98]
	v_add3_u32 v96, 0, v8, v9
	v_mul_u32_u24_e32 v8, 0x780, v240
	v_lshlrev_b32_e32 v9, 3, v241
	v_fma_f64 v[159:160], v[209:210], 2.0, -v[103:104]
	v_add3_u32 v107, 0, v8, v9
	s_movk_i32 s0, 0xf0
	v_fma_f64 v[165:166], v[213:214], 2.0, -v[99:100]
	v_fma_f64 v[169:170], v[215:216], 2.0, -v[155:156]
	;; [unrolled: 1-line block ×7, first 2 shown]
	ds_write2_b64 v69, v[18:19], v[42:43] offset1:120
	ds_write2_b64 v76, v[161:162], v[44:45] offset1:120
	;; [unrolled: 1-line block ×8, first 2 shown]
	s_waitcnt lgkmcnt(0)
	s_barrier
	ds_read2st64_b64 v[8:11], v86 offset1:30
	ds_read2st64_b64 v[12:15], v86 offset0:32 offset1:34
	ds_read_b64 v[181:182], v91
	ds_read_b64 v[183:184], v92
	ds_read2st64_b64 v[16:19], v86 offset0:36 offset1:38
	ds_read_b64 v[185:186], v87
	ds_read2st64_b64 v[34:37], v86 offset0:40 offset1:42
	ds_read2st64_b64 v[38:41], v86 offset0:44 offset1:46
	ds_read_b64 v[187:188], v93
	ds_read_b64 v[189:190], v94
	;; [unrolled: 1-line block ×4, first 2 shown]
	ds_read2st64_b64 v[42:45], v86 offset0:48 offset1:50
	ds_read_b64 v[195:196], v89
	ds_read_b64 v[197:198], v88
	;; [unrolled: 1-line block ×3, first 2 shown]
	ds_read2st64_b64 v[46:49], v86 offset0:52 offset1:54
	ds_read2st64_b64 v[50:53], v86 offset0:56 offset1:58
	ds_read_b64 v[201:202], v20
	ds_read_b64 v[203:204], v21
	;; [unrolled: 1-line block ×4, first 2 shown]
	s_waitcnt lgkmcnt(0)
	s_barrier
	ds_write2_b64 v2, v[56:57], v[72:73] offset1:120
	ds_write2_b64 v31, v[105:106], v[62:63] offset1:120
	;; [unrolled: 1-line block ×15, first 2 shown]
	v_add_u32_e32 v2, 0xffffff90, v0
	v_cmp_gt_u32_e64 s[0:1], s0, v130
	v_cndmask_b32_e64 v2, v2, v130, s[0:1]
	v_lshlrev_b64 v[56:57], 4, v[2:3]
	v_lshlrev_b64 v[54:55], 4, v[0:1]
	v_add_co_u32_e64 v56, s[0:1], s8, v56
	v_addc_co_u32_e64 v57, s[0:1], v24, v57, s[0:1]
	v_add_co_u32_e64 v54, s[0:1], s8, v54
	v_addc_co_u32_e64 v55, s[0:1], v24, v55, s[0:1]
	s_waitcnt lgkmcnt(0)
	s_barrier
	global_load_dwordx4 v[56:59], v[56:57], off offset:3680
	v_lshrrev_b32_e32 v31, 23, v4
	global_load_dwordx4 v[62:65], v[54:55], off offset:3936
	v_mul_lo_u16_e32 v4, 0xf0, v31
	v_sub_u16_e32 v121, v140, v4
	v_lshlrev_b32_e32 v4, 4, v121
	global_load_dwordx4 v[66:69], v4, s[8:9] offset:3680
	v_lshrrev_b32_e32 v4, 23, v5
	v_mul_lo_u16_e32 v4, 0xf0, v4
	v_sub_u16_e32 v126, v143, v4
	v_lshlrev_b32_e32 v4, 4, v126
	v_lshrrev_b32_e32 v128, 23, v6
	v_lshrrev_b32_e32 v230, 23, v22
	global_load_dwordx4 v[70:73], v4, s[8:9] offset:3680
	global_load_dwordx4 v[74:77], v[54:55], off offset:3680
	v_mul_lo_u16_e32 v4, 0xf0, v128
	v_mul_lo_u16_e32 v5, 0xf0, v230
	v_sub_u16_e32 v134, v145, v4
	v_sub_u16_e32 v231, v127, v5
	v_lshlrev_b32_e32 v4, 4, v134
	v_lshlrev_b32_e32 v82, 4, v231
	global_load_dwordx4 v[78:81], v4, s[8:9] offset:3680
	global_load_dwordx4 v[95:98], v82, s[8:9] offset:3680
	v_lshrrev_b32_e32 v4, 23, v7
	v_mul_lo_u16_e32 v4, 0xf0, v4
	v_sub_u16_e32 v229, v137, v4
	v_lshlrev_b32_e32 v4, 4, v229
	global_load_dwordx4 v[4:7], v4, s[8:9] offset:3680
	v_lshrrev_b32_e32 v82, 23, v30
	v_mul_lo_u16_e32 v82, 0xf0, v82
	v_lshrrev_b32_e32 v233, 23, v29
	v_sub_u16_e32 v232, v132, v82
	v_mul_lo_u16_e32 v83, 0xf0, v233
	v_lshlrev_b32_e32 v82, 4, v232
	v_sub_u16_e32 v234, v124, v83
	v_lshlrev_b32_e32 v83, 4, v234
	global_load_dwordx4 v[99:102], v82, s[8:9] offset:3680
	global_load_dwordx4 v[103:106], v83, s[8:9] offset:3680
	v_lshrrev_b32_e32 v82, 23, v28
	v_mul_lo_u16_e32 v82, 0xf0, v82
	v_lshrrev_b32_e32 v236, 23, v23
	v_sub_u16_e32 v235, v129, v82
	v_mul_lo_u16_e32 v83, 0xf0, v236
	v_lshlrev_b32_e32 v82, 4, v235
	v_sub_u16_e32 v237, v139, v83
	v_lshlrev_b32_e32 v83, 4, v237
	global_load_dwordx4 v[107:110], v82, s[8:9] offset:3680
	global_load_dwordx4 v[111:114], v83, s[8:9] offset:3680
	v_lshrrev_b32_e32 v82, 23, v27
	v_mul_lo_u16_e32 v82, 0xf0, v82
	v_lshrrev_b32_e32 v239, 23, v26
	v_sub_u16_e32 v238, v125, v82
	v_mul_lo_u16_e32 v83, 0xf0, v239
	v_lshlrev_b32_e32 v82, 4, v238
	v_sub_u16_e32 v240, v133, v83
	global_load_dwordx4 v[115:118], v82, s[8:9] offset:3680
	v_lshlrev_b32_e32 v82, 4, v240
	global_load_dwordx4 v[147:150], v82, s[8:9] offset:3680
	v_lshrrev_b32_e32 v82, 23, v25
	v_mul_lo_u16_e32 v82, 0xf0, v82
	v_sub_u16_e32 v241, v142, v82
	v_lshlrev_b32_e32 v82, 4, v241
	global_load_dwordx4 v[151:154], v82, s[8:9] offset:3680
	ds_read2st64_b64 v[155:158], v86 offset1:30
	ds_read2st64_b64 v[159:162], v86 offset0:32 offset1:34
	ds_read_b64 v[82:83], v91
	ds_read_b64 v[119:120], v92
	ds_read2st64_b64 v[163:166], v86 offset0:36 offset1:38
	ds_read_b64 v[179:180], v87
	ds_read2st64_b64 v[167:170], v86 offset0:40 offset1:42
	ds_read2st64_b64 v[171:174], v86 offset0:44 offset1:46
	ds_read_b64 v[213:214], v93
	ds_read_b64 v[215:216], v94
	ds_read_b64 v[217:218], v60
	ds_read_b64 v[219:220], v61
	ds_read2st64_b64 v[175:178], v86 offset0:48 offset1:50
	ds_read_b64 v[223:224], v89
	ds_read_b64 v[225:226], v88
	;; [unrolled: 1-line block ×3, first 2 shown]
	s_movk_i32 s0, 0xef
	v_cmp_lt_u32_e64 s[0:1], s0, v130
	v_lshlrev_b32_e32 v2, 3, v2
	v_mul_lo_u16_sdwa v30, v30, s5 dst_sel:DWORD dst_unused:UNUSED_PAD src0_sel:BYTE_3 src1_sel:DWORD
	v_mul_lo_u16_sdwa v29, v29, s5 dst_sel:DWORD dst_unused:UNUSED_PAD src0_sel:BYTE_3 src1_sel:DWORD
	;; [unrolled: 1-line block ×6, first 2 shown]
	s_waitcnt vmcnt(14) lgkmcnt(14)
	v_mul_f64 v[209:210], v[159:160], v[58:59]
	v_mul_f64 v[58:59], v[12:13], v[58:59]
	s_waitcnt vmcnt(13)
	v_mul_f64 v[211:212], v[161:162], v[64:65]
	v_fma_f64 v[209:210], v[12:13], v[56:57], -v[209:210]
	v_mul_f64 v[12:13], v[14:15], v[64:65]
	v_fma_f64 v[64:65], v[14:15], v[62:63], -v[211:212]
	s_waitcnt vmcnt(12) lgkmcnt(11)
	v_mul_f64 v[211:212], v[163:164], v[68:69]
	v_mul_f64 v[68:69], v[16:17], v[68:69]
	s_waitcnt vmcnt(11)
	v_mul_f64 v[221:222], v[165:166], v[72:73]
	v_mul_f64 v[72:73], v[18:19], v[72:73]
	v_fma_f64 v[159:160], v[159:160], v[56:57], v[58:59]
	v_fma_f64 v[62:63], v[161:162], v[62:63], v[12:13]
	ds_read2st64_b64 v[12:15], v86 offset0:52 offset1:54
	ds_read2st64_b64 v[56:59], v86 offset0:56 offset1:58
	v_fma_f64 v[16:17], v[16:17], v[66:67], -v[211:212]
	v_fma_f64 v[66:67], v[163:164], v[66:67], v[68:69]
	v_fma_f64 v[18:19], v[18:19], v[70:71], -v[221:222]
	v_fma_f64 v[68:69], v[165:166], v[70:71], v[72:73]
	s_waitcnt vmcnt(9) lgkmcnt(11)
	v_mul_f64 v[70:71], v[167:168], v[80:81]
	v_mul_f64 v[72:73], v[34:35], v[80:81]
	;; [unrolled: 1-line block ×3, first 2 shown]
	s_waitcnt vmcnt(7)
	v_mul_f64 v[80:81], v[169:170], v[6:7]
	v_mul_f64 v[6:7], v[36:37], v[6:7]
	v_add_f64 v[64:65], v[183:184], -v[64:65]
	v_add_f64 v[16:17], v[197:198], -v[16:17]
	v_add_f64 v[18:19], v[195:196], -v[18:19]
	v_fma_f64 v[34:35], v[34:35], v[78:79], -v[70:71]
	v_fma_f64 v[70:71], v[167:168], v[78:79], v[72:73]
	v_mul_f64 v[72:73], v[10:11], v[76:77]
	v_fma_f64 v[36:37], v[36:37], v[4:5], -v[80:81]
	s_waitcnt vmcnt(6) lgkmcnt(10)
	v_mul_f64 v[78:79], v[173:174], v[101:102]
	v_mul_f64 v[80:81], v[40:41], v[101:102]
	v_fma_f64 v[4:5], v[169:170], v[4:5], v[6:7]
	v_mul_f64 v[6:7], v[171:172], v[97:98]
	v_mul_f64 v[76:77], v[38:39], v[97:98]
	s_waitcnt vmcnt(5) lgkmcnt(5)
	v_mul_f64 v[97:98], v[175:176], v[105:106]
	v_mul_f64 v[101:102], v[42:43], v[105:106]
	v_fma_f64 v[10:11], v[10:11], v[74:75], -v[221:222]
	v_fma_f64 v[72:73], v[157:158], v[74:75], v[72:73]
	v_fma_f64 v[40:41], v[40:41], v[99:100], -v[78:79]
	v_fma_f64 v[74:75], v[173:174], v[99:100], v[80:81]
	s_waitcnt vmcnt(4)
	v_mul_f64 v[78:79], v[177:178], v[109:110]
	v_mul_f64 v[80:81], v[44:45], v[109:110]
	v_fma_f64 v[6:7], v[38:39], v[95:96], -v[6:7]
	v_fma_f64 v[38:39], v[171:172], v[95:96], v[76:77]
	v_fma_f64 v[42:43], v[42:43], v[103:104], -v[97:98]
	s_waitcnt vmcnt(3) lgkmcnt(1)
	v_mul_f64 v[95:96], v[12:13], v[113:114]
	v_mul_f64 v[97:98], v[46:47], v[113:114]
	v_fma_f64 v[76:77], v[175:176], v[103:104], v[101:102]
	s_waitcnt vmcnt(2)
	v_mul_f64 v[99:100], v[14:15], v[117:118]
	v_mul_f64 v[101:102], v[48:49], v[117:118]
	s_waitcnt vmcnt(1) lgkmcnt(0)
	v_mul_f64 v[103:104], v[56:57], v[149:150]
	v_add_f64 v[10:11], v[8:9], -v[10:11]
	v_fma_f64 v[44:45], v[44:45], v[107:108], -v[78:79]
	v_fma_f64 v[78:79], v[177:178], v[107:108], v[80:81]
	s_waitcnt vmcnt(0)
	v_mul_f64 v[80:81], v[58:59], v[153:154]
	v_fma_f64 v[46:47], v[46:47], v[111:112], -v[95:96]
	v_fma_f64 v[12:13], v[12:13], v[111:112], v[97:98]
	v_mul_f64 v[95:96], v[52:53], v[153:154]
	v_add_f64 v[97:98], v[155:156], -v[72:73]
	v_add_f64 v[72:73], v[181:182], -v[209:210]
	v_mul_f64 v[105:106], v[50:51], v[149:150]
	v_fma_f64 v[48:49], v[48:49], v[115:116], -v[99:100]
	v_fma_f64 v[14:15], v[14:15], v[115:116], v[101:102]
	v_fma_f64 v[50:51], v[50:51], v[147:148], -v[103:104]
	v_fma_f64 v[8:9], v[8:9], 2.0, -v[10:11]
	v_fma_f64 v[52:53], v[52:53], v[151:152], -v[80:81]
	v_fma_f64 v[58:59], v[58:59], v[151:152], v[95:96]
	v_fma_f64 v[95:96], v[181:182], 2.0, -v[72:73]
	v_fma_f64 v[56:57], v[56:57], v[147:148], v[105:106]
	v_add_f64 v[34:35], v[185:186], -v[34:35]
	v_add_f64 v[36:37], v[187:188], -v[36:37]
	;; [unrolled: 1-line block ×6, first 2 shown]
	ds_read_b64 v[161:162], v20
	ds_read_b64 v[163:164], v21
	;; [unrolled: 1-line block ×4, first 2 shown]
	v_fma_f64 v[101:102], v[183:184], 2.0, -v[64:65]
	v_add_f64 v[111:112], v[213:214], -v[4:5]
	v_fma_f64 v[4:5], v[197:198], 2.0, -v[16:17]
	v_add_f64 v[42:43], v[199:200], -v[44:45]
	v_add_f64 v[46:47], v[201:202], -v[46:47]
	s_waitcnt lgkmcnt(3)
	v_add_f64 v[169:170], v[161:162], -v[12:13]
	v_add_f64 v[12:13], v[203:204], -v[48:49]
	s_waitcnt lgkmcnt(2)
	;; [unrolled: 3-line block ×3, first 2 shown]
	s_barrier
	ds_write2_b64 v86, v[8:9], v[10:11] offset1:240
	v_mov_b32_e32 v8, 0xf00
	v_add_f64 v[48:49], v[207:208], -v[52:53]
	v_cndmask_b32_e64 v8, 0, v8, s[0:1]
	v_add_f64 v[99:100], v[82:83], -v[159:160]
	v_add3_u32 v2, 0, v8, v2
	v_add_f64 v[62:63], v[119:120], -v[62:63]
	ds_write2_b64 v2, v[95:96], v[72:73] offset1:240
	v_lshl_add_u32 v95, v0, 3, 0
	v_mul_u32_u24_e32 v8, 0xf00, v31
	v_lshlrev_b32_e32 v9, 3, v121
	v_fma_f64 v[80:81], v[155:156], 2.0, -v[97:98]
	v_add_f64 v[105:106], v[225:226], -v[66:67]
	v_add_f64 v[107:108], v[223:224], -v[68:69]
	;; [unrolled: 1-line block ×3, first 2 shown]
	v_fma_f64 v[66:67], v[195:196], 2.0, -v[18:19]
	v_fma_f64 v[68:69], v[185:186], 2.0, -v[34:35]
	;; [unrolled: 1-line block ×3, first 2 shown]
	v_add_f64 v[149:150], v[217:218], -v[74:75]
	v_fma_f64 v[44:45], v[189:190], 2.0, -v[6:7]
	v_fma_f64 v[74:75], v[191:192], 2.0, -v[38:39]
	;; [unrolled: 1-line block ×3, first 2 shown]
	v_add_u32_e32 v96, 0xf80, v95
	v_add3_u32 v31, 0, v8, v9
	ds_write2_b64 v96, v[101:102], v[64:65] offset1:240
	ds_write2_b64 v31, v[4:5], v[16:17] offset1:240
	v_lshl_add_u32 v4, v126, 3, 0
	v_fma_f64 v[159:160], v[199:200], 2.0, -v[42:43]
	v_add_u32_e32 v101, 0x1e00, v4
	v_mul_u32_u24_e32 v4, 0xf00, v128
	v_lshlrev_b32_e32 v5, 3, v134
	v_add3_u32 v102, 0, v4, v5
	v_lshl_add_u32 v4, v229, 3, 0
	v_fma_f64 v[50:51], v[201:202], 2.0, -v[46:47]
	v_fma_f64 v[52:53], v[203:204], 2.0, -v[12:13]
	;; [unrolled: 1-line block ×3, first 2 shown]
	v_add_u32_e32 v121, 0x2d00, v4
	v_mul_u32_u24_e32 v4, 0xf00, v230
	v_lshlrev_b32_e32 v5, 3, v231
	v_add_f64 v[76:77], v[219:220], -v[76:77]
	v_add_f64 v[78:79], v[227:228], -v[78:79]
	;; [unrolled: 1-line block ×4, first 2 shown]
	v_fma_f64 v[175:176], v[207:208], 2.0, -v[48:49]
	v_add3_u32 v126, 0, v4, v5
	v_lshl_add_u32 v4, v232, 3, 0
	v_fma_f64 v[82:83], v[82:83], 2.0, -v[99:100]
	v_add_u32_e32 v128, 0x3c00, v4
	v_mul_u32_u24_e32 v4, 0xf00, v233
	v_lshlrev_b32_e32 v5, 3, v234
	v_fma_f64 v[103:104], v[119:120], 2.0, -v[62:63]
	v_add3_u32 v134, 0, v4, v5
	v_lshl_add_u32 v4, v235, 3, 0
	v_fma_f64 v[113:114], v[225:226], 2.0, -v[105:106]
	ds_write2_b64 v101, v[66:67], v[18:19] offset1:240
	ds_write2_b64 v102, v[68:69], v[34:35] offset1:240
	;; [unrolled: 1-line block ×6, first 2 shown]
	v_add_u32_e32 v155, 0x4b00, v4
	v_mul_u32_u24_e32 v4, 0xf00, v236
	v_lshlrev_b32_e32 v5, 3, v237
	v_fma_f64 v[115:116], v[223:224], 2.0, -v[107:108]
	v_add3_u32 v156, 0, v4, v5
	v_lshl_add_u32 v4, v238, 3, 0
	v_fma_f64 v[117:118], v[179:180], 2.0, -v[109:110]
	ds_write2_b64 v155, v[159:160], v[42:43] offset1:240
	v_add_u32_e32 v159, 0x5a00, v4
	v_mul_u32_u24_e32 v4, 0xf00, v239
	v_lshlrev_b32_e32 v5, 3, v240
	v_fma_f64 v[119:120], v[213:214], 2.0, -v[111:112]
	v_add3_u32 v160, 0, v4, v5
	v_lshl_add_u32 v4, v241, 3, 0
	v_fma_f64 v[151:152], v[215:216], 2.0, -v[147:148]
	ds_write2_b64 v156, v[50:51], v[46:47] offset1:240
	ds_write2_b64 v159, v[52:53], v[12:13] offset1:240
	;; [unrolled: 1-line block ×3, first 2 shown]
	v_add_u32_e32 v173, 0x6900, v4
	v_fma_f64 v[153:154], v[217:218], 2.0, -v[149:150]
	v_fma_f64 v[157:158], v[219:220], 2.0, -v[76:77]
	v_fma_f64 v[167:168], v[227:228], 2.0, -v[78:79]
	v_fma_f64 v[161:162], v[161:162], 2.0, -v[169:170]
	v_fma_f64 v[163:164], v[163:164], 2.0, -v[171:172]
	v_fma_f64 v[165:166], v[165:166], 2.0, -v[56:57]
	v_fma_f64 v[177:178], v[211:212], 2.0, -v[58:59]
	ds_write2_b64 v173, v[175:176], v[48:49] offset1:240
	s_waitcnt lgkmcnt(0)
	s_barrier
	ds_read2st64_b64 v[34:37], v86 offset1:30
	ds_read2st64_b64 v[38:41], v86 offset0:32 offset1:34
	ds_read_b64 v[203:204], v91
	ds_read_b64 v[205:206], v92
	ds_read2st64_b64 v[42:45], v86 offset0:36 offset1:38
	ds_read_b64 v[207:208], v87
	ds_read2st64_b64 v[46:49], v86 offset0:40 offset1:42
	ds_read2st64_b64 v[50:53], v86 offset0:44 offset1:46
	ds_read_b64 v[209:210], v93
	ds_read_b64 v[16:17], v94
	;; [unrolled: 1-line block ×4, first 2 shown]
	ds_read2st64_b64 v[64:67], v86 offset0:48 offset1:50
	ds_read_b64 v[211:212], v89
	ds_read_b64 v[213:214], v88
	;; [unrolled: 1-line block ×3, first 2 shown]
	ds_read2st64_b64 v[68:71], v86 offset0:52 offset1:54
	ds_read2st64_b64 v[72:75], v86 offset0:56 offset1:58
	ds_read_b64 v[10:11], v20
	ds_read_b64 v[8:9], v21
	;; [unrolled: 1-line block ×4, first 2 shown]
	s_waitcnt lgkmcnt(0)
	s_barrier
	ds_write2_b64 v86, v[80:81], v[97:98] offset1:240
	ds_write2_b64 v2, v[82:83], v[99:100] offset1:240
	;; [unrolled: 1-line block ×15, first 2 shown]
	v_add_co_u32_e64 v56, s[0:1], s6, v54
	v_lshlrev_b64 v[58:59], 4, v[130:131]
	v_addc_co_u32_e64 v57, s[0:1], 0, v55, s[0:1]
	v_add_co_u32_e64 v58, s[0:1], s8, v58
	v_addc_co_u32_e64 v59, s[0:1], v24, v59, s[0:1]
	v_add_co_u32_e64 v76, s[0:1], s6, v58
	v_lshlrev_b64 v[62:63], 4, v[135:136]
	v_addc_co_u32_e64 v77, s[0:1], 0, v59, s[0:1]
	v_add_co_u32_e64 v62, s[0:1], s8, v62
	v_addc_co_u32_e64 v63, s[0:1], v24, v63, s[0:1]
	v_add_co_u32_e64 v80, s[0:1], s6, v62
	v_addc_co_u32_e64 v81, s[0:1], 0, v63, s[0:1]
	v_add_u32_e32 v2, 0xffffffa0, v0
	v_cmp_gt_u32_e64 s[0:1], s5, v140
	v_cndmask_b32_e64 v2, v2, v140, s[0:1]
	v_lshlrev_b64 v[96:97], 4, v[2:3]
	s_waitcnt lgkmcnt(0)
	v_add_co_u32_e64 v31, s[0:1], s8, v96
	v_addc_co_u32_e64 v96, s[0:1], v24, v97, s[0:1]
	v_add_co_u32_e64 v104, s[0:1], s6, v31
	v_addc_co_u32_e64 v105, s[0:1], 0, v96, s[0:1]
	s_movk_i32 s0, 0x2000
	s_barrier
	global_load_dwordx4 v[76:79], v[76:77], off offset:3424
	s_nop 0
	global_load_dwordx4 v[80:83], v[80:81], off offset:3424
	s_nop 0
	global_load_dwordx4 v[96:99], v[56:57], off offset:3424
	global_load_dwordx4 v[100:103], v[56:57], off offset:3936
	v_add_co_u32_e64 v56, s[0:1], s0, v54
	v_lshlrev_b32_e32 v31, 4, v0
	v_addc_co_u32_e64 v57, s[0:1], 0, v55, s[0:1]
	global_load_dwordx4 v[104:107], v[104:105], off offset:3424
	s_nop 0
	global_load_dwordx4 v[108:111], v[56:57], off offset:1888
	v_add_u32_e32 v56, 0x1200, v31
	v_add_co_u32_e64 v56, s[0:1], s8, v56
	v_addc_co_u32_e64 v57, s[0:1], 0, v24, s[0:1]
	v_mul_lo_u16_sdwa v112, v22, s5 dst_sel:DWORD dst_unused:UNUSED_PAD src0_sel:BYTE_3 src1_sel:DWORD
	v_add_co_u32_e64 v56, s[0:1], s6, v56
	v_sub_u16_e32 v126, v127, v112
	v_addc_co_u32_e64 v57, s[0:1], 0, v57, s[0:1]
	v_lshlrev_b32_e32 v112, 4, v126
	v_add_co_u32_e64 v112, s[0:1], s8, v112
	v_addc_co_u32_e64 v113, s[0:1], 0, v24, s[0:1]
	v_add_co_u32_e64 v116, s[0:1], s6, v112
	v_sub_u16_e32 v128, v132, v30
	v_addc_co_u32_e64 v117, s[0:1], 0, v113, s[0:1]
	v_lshlrev_b32_e32 v30, 4, v128
	v_add_co_u32_e64 v30, s[0:1], s8, v30
	global_load_dwordx4 v[112:115], v[56:57], off offset:3424
	s_nop 0
	global_load_dwordx4 v[116:119], v[116:117], off offset:3424
	v_addc_co_u32_e64 v57, s[0:1], 0, v24, s[0:1]
	v_add_co_u32_e64 v56, s[0:1], s6, v30
	v_sub_u16_e32 v131, v124, v29
	v_addc_co_u32_e64 v57, s[0:1], 0, v57, s[0:1]
	v_lshlrev_b32_e32 v29, 4, v131
	v_add_co_u32_e64 v29, s[0:1], s8, v29
	v_addc_co_u32_e64 v30, s[0:1], 0, v24, s[0:1]
	v_add_co_u32_e64 v29, s[0:1], s6, v29
	v_sub_u16_e32 v134, v129, v28
	v_addc_co_u32_e64 v30, s[0:1], 0, v30, s[0:1]
	v_lshlrev_b32_e32 v28, 4, v134
	v_add_co_u32_e64 v28, s[0:1], s8, v28
	global_load_dwordx4 v[147:150], v[56:57], off offset:3424
	global_load_dwordx4 v[151:154], v[29:30], off offset:3424
	v_addc_co_u32_e64 v29, s[0:1], 0, v24, s[0:1]
	v_mul_lo_u16_sdwa v30, v23, s5 dst_sel:DWORD dst_unused:UNUSED_PAD src0_sel:BYTE_3 src1_sel:DWORD
	v_add_co_u32_e64 v28, s[0:1], s6, v28
	v_sub_u16_e32 v136, v139, v30
	v_addc_co_u32_e64 v29, s[0:1], 0, v29, s[0:1]
	v_lshlrev_b32_e32 v30, 4, v136
	v_add_co_u32_e64 v30, s[0:1], s8, v30
	v_addc_co_u32_e64 v57, s[0:1], 0, v24, s[0:1]
	v_add_co_u32_e64 v56, s[0:1], s6, v30
	v_sub_u16_e32 v237, v125, v27
	v_addc_co_u32_e64 v57, s[0:1], 0, v57, s[0:1]
	v_lshlrev_b32_e32 v27, 4, v237
	v_add_co_u32_e64 v27, s[0:1], s8, v27
	global_load_dwordx4 v[155:158], v[28:29], off offset:3424
	global_load_dwordx4 v[159:162], v[56:57], off offset:3424
	v_addc_co_u32_e64 v28, s[0:1], 0, v24, s[0:1]
	v_add_co_u32_e64 v27, s[0:1], s6, v27
	v_sub_u16_e32 v238, v133, v26
	v_addc_co_u32_e64 v28, s[0:1], 0, v28, s[0:1]
	v_lshlrev_b32_e32 v26, 4, v238
	v_add_co_u32_e64 v26, s[0:1], s8, v26
	v_addc_co_u32_e64 v29, s[0:1], 0, v24, s[0:1]
	v_add_co_u32_e64 v56, s[0:1], s6, v26
	v_addc_co_u32_e64 v57, s[0:1], 0, v29, s[0:1]
	global_load_dwordx4 v[26:29], v[27:28], off offset:3424
	s_nop 0
	global_load_dwordx4 v[163:166], v[56:57], off offset:3424
	v_sub_u16_e32 v239, v142, v25
	v_lshlrev_b32_e32 v25, 4, v239
	v_add_co_u32_e64 v25, s[0:1], s8, v25
	v_addc_co_u32_e64 v30, s[0:1], 0, v24, s[0:1]
	v_add_co_u32_e64 v56, s[0:1], s6, v25
	v_addc_co_u32_e64 v57, s[0:1], 0, v30, s[0:1]
	global_load_dwordx4 v[167:170], v[56:57], off offset:3424
	ds_read2st64_b64 v[171:174], v86 offset1:30
	ds_read2st64_b64 v[175:178], v86 offset0:32 offset1:34
	ds_read_b64 v[56:57], v91
	ds_read_b64 v[120:121], v92
	ds_read2st64_b64 v[179:182], v86 offset0:36 offset1:38
	ds_read_b64 v[215:216], v87
	ds_read2st64_b64 v[183:186], v86 offset0:40 offset1:42
	ds_read2st64_b64 v[187:190], v86 offset0:44 offset1:46
	ds_read_b64 v[217:218], v93
	ds_read_b64 v[219:220], v94
	;; [unrolled: 1-line block ×4, first 2 shown]
	ds_read2st64_b64 v[191:194], v86 offset0:48 offset1:50
	ds_read_b64 v[225:226], v89
	ds_read_b64 v[227:228], v88
	;; [unrolled: 1-line block ×3, first 2 shown]
	s_waitcnt vmcnt(12) lgkmcnt(14)
	v_mul_f64 v[231:232], v[173:174], v[98:99]
	v_mul_f64 v[98:99], v[36:37], v[98:99]
	v_mul_f64 v[233:234], v[175:176], v[78:79]
	v_mul_f64 v[78:79], v[38:39], v[78:79]
	v_mul_f64 v[235:236], v[177:178], v[82:83]
	v_mul_f64 v[82:83], v[40:41], v[82:83]
	ds_read2st64_b64 v[195:198], v86 offset0:52 offset1:54
	ds_read2st64_b64 v[199:202], v86 offset0:56 offset1:58
	s_movk_i32 s0, 0x1df
	v_fma_f64 v[36:37], v[36:37], v[96:97], -v[231:232]
	v_fma_f64 v[96:97], v[173:174], v[96:97], v[98:99]
	v_fma_f64 v[38:39], v[38:39], v[76:77], -v[233:234]
	v_fma_f64 v[76:77], v[175:176], v[76:77], v[78:79]
	v_fma_f64 v[40:41], v[40:41], v[80:81], -v[235:236]
	v_fma_f64 v[78:79], v[177:178], v[80:81], v[82:83]
	s_waitcnt vmcnt(10) lgkmcnt(13)
	v_mul_f64 v[80:81], v[179:180], v[106:107]
	v_mul_f64 v[82:83], v[42:43], v[106:107]
	;; [unrolled: 1-line block ×4, first 2 shown]
	s_waitcnt vmcnt(9) lgkmcnt(11)
	v_mul_f64 v[106:107], v[183:184], v[110:111]
	v_mul_f64 v[110:111], v[46:47], v[110:111]
	v_add_f64 v[36:37], v[34:35], -v[36:37]
	v_add_f64 v[38:39], v[203:204], -v[38:39]
	v_fma_f64 v[42:43], v[42:43], v[104:105], -v[80:81]
	v_fma_f64 v[80:81], v[179:180], v[104:105], v[82:83]
	v_fma_f64 v[44:45], v[44:45], v[100:101], -v[98:99]
	v_fma_f64 v[82:83], v[181:182], v[100:101], v[102:103]
	v_fma_f64 v[46:47], v[46:47], v[108:109], -v[106:107]
	s_waitcnt vmcnt(8)
	v_mul_f64 v[100:101], v[185:186], v[114:115]
	v_mul_f64 v[102:103], v[48:49], v[114:115]
	s_waitcnt vmcnt(7) lgkmcnt(10)
	v_mul_f64 v[104:105], v[187:188], v[118:119]
	v_mul_f64 v[106:107], v[50:51], v[118:119]
	s_waitcnt vmcnt(5)
	v_mul_f64 v[118:119], v[64:65], v[153:154]
	v_fma_f64 v[98:99], v[183:184], v[108:109], v[110:111]
	v_mul_f64 v[108:109], v[189:190], v[149:150]
	v_mul_f64 v[110:111], v[52:53], v[149:150]
	v_fma_f64 v[48:49], v[48:49], v[112:113], -v[100:101]
	v_fma_f64 v[100:101], v[185:186], v[112:113], v[102:103]
	v_fma_f64 v[50:51], v[50:51], v[116:117], -v[104:105]
	v_fma_f64 v[102:103], v[187:188], v[116:117], v[106:107]
	s_waitcnt lgkmcnt(5)
	v_fma_f64 v[106:107], v[191:192], v[151:152], v[118:119]
	v_mul_f64 v[114:115], v[191:192], v[153:154]
	v_fma_f64 v[52:53], v[52:53], v[147:148], -v[108:109]
	v_fma_f64 v[104:105], v[189:190], v[147:148], v[110:111]
	ds_read_b64 v[173:174], v20
	ds_read_b64 v[175:176], v21
	ds_read_b64 v[177:178], v32
	ds_read_b64 v[231:232], v33
	v_add_f64 v[78:79], v[120:121], -v[78:79]
	v_add_f64 v[42:43], v[213:214], -v[42:43]
	;; [unrolled: 1-line block ×4, first 2 shown]
	v_fma_f64 v[64:65], v[64:65], v[151:152], -v[114:115]
	s_waitcnt vmcnt(4)
	v_mul_f64 v[108:109], v[193:194], v[157:158]
	s_waitcnt vmcnt(3) lgkmcnt(5)
	v_mul_f64 v[112:113], v[195:196], v[161:162]
	v_mul_f64 v[110:111], v[66:67], v[157:158]
	;; [unrolled: 1-line block ×3, first 2 shown]
	v_add_f64 v[46:47], v[207:208], -v[46:47]
	v_add_f64 v[48:49], v[209:210], -v[48:49]
	;; [unrolled: 1-line block ×4, first 2 shown]
	v_fma_f64 v[66:67], v[66:67], v[155:156], -v[108:109]
	v_fma_f64 v[68:69], v[68:69], v[159:160], -v[112:113]
	v_add_f64 v[64:65], v[12:13], -v[64:65]
	v_fma_f64 v[108:109], v[193:194], v[155:156], v[110:111]
	v_fma_f64 v[110:111], v[195:196], v[159:160], v[114:115]
	v_add_f64 v[96:97], v[171:172], -v[96:97]
	v_add_f64 v[76:77], v[56:57], -v[76:77]
	v_fma_f64 v[34:35], v[34:35], 2.0, -v[36:37]
	v_add_f64 v[66:67], v[18:19], -v[66:67]
	s_waitcnt vmcnt(2)
	v_mul_f64 v[116:117], v[197:198], v[28:29]
	v_mul_f64 v[28:29], v[70:71], v[28:29]
	s_waitcnt vmcnt(1) lgkmcnt(4)
	v_mul_f64 v[118:119], v[199:200], v[165:166]
	v_mul_f64 v[147:148], v[72:73], v[165:166]
	v_add_f64 v[68:69], v[10:11], -v[68:69]
	v_fma_f64 v[114:115], v[203:204], 2.0, -v[38:39]
	v_add_f64 v[80:81], v[227:228], -v[80:81]
	v_fma_f64 v[149:150], v[211:212], 2.0, -v[44:45]
	v_fma_f64 v[70:71], v[70:71], v[26:27], -v[116:117]
	v_fma_f64 v[25:26], v[197:198], v[26:27], v[28:29]
	v_fma_f64 v[27:28], v[72:73], v[163:164], -v[118:119]
	v_fma_f64 v[29:30], v[199:200], v[163:164], v[147:148]
	s_waitcnt vmcnt(0)
	v_mul_f64 v[72:73], v[201:202], v[169:170]
	v_mul_f64 v[112:113], v[74:75], v[169:170]
	v_fma_f64 v[118:119], v[120:121], 2.0, -v[78:79]
	v_fma_f64 v[120:121], v[213:214], 2.0, -v[42:43]
	v_add_f64 v[70:71], v[8:9], -v[70:71]
	s_waitcnt lgkmcnt(2)
	v_add_f64 v[169:170], v[175:176], -v[25:26]
	v_add_f64 v[25:26], v[6:7], -v[27:28]
	v_fma_f64 v[116:117], v[205:206], 2.0, -v[40:41]
	v_fma_f64 v[72:73], v[74:75], v[167:168], -v[72:73]
	v_fma_f64 v[74:75], v[201:202], v[167:168], v[112:113]
	v_fma_f64 v[153:154], v[207:208], 2.0, -v[46:47]
	v_fma_f64 v[157:158], v[209:210], 2.0, -v[48:49]
	;; [unrolled: 1-line block ×6, first 2 shown]
	v_add_f64 v[27:28], v[4:5], -v[72:73]
	v_fma_f64 v[112:113], v[171:172], 2.0, -v[96:97]
	v_add_f64 v[82:83], v[225:226], -v[82:83]
	v_add_f64 v[98:99], v[215:216], -v[98:99]
	;; [unrolled: 1-line block ×8, first 2 shown]
	s_waitcnt lgkmcnt(1)
	v_add_f64 v[29:30], v[177:178], -v[29:30]
	s_waitcnt lgkmcnt(0)
	v_add_f64 v[72:73], v[231:232], -v[74:75]
	v_fma_f64 v[10:11], v[10:11], 2.0, -v[68:69]
	v_fma_f64 v[8:9], v[8:9], 2.0, -v[70:71]
	;; [unrolled: 1-line block ×5, first 2 shown]
	s_barrier
	ds_write_b64 v86, v[34:35]
	ds_write_b64 v86, v[36:37] offset:3840
	ds_write_b64 v91, v[114:115]
	ds_write_b64 v91, v[38:39] offset:3840
	;; [unrolled: 2-line block ×3, first 2 shown]
	v_mov_b32_e32 v34, 0x1e00
	v_cmp_lt_u32_e64 s[0:1], s0, v140
	s_movk_i32 s5, 0x1e00
	v_cndmask_b32_e64 v34, 0, v34, s[0:1]
	v_lshlrev_b32_e32 v2, 3, v2
	v_add3_u32 v2, 0, v34, v2
	v_mul_u32_u24_sdwa v22, v22, s5 dst_sel:DWORD dst_unused:UNUSED_PAD src0_sel:BYTE_3 src1_sel:DWORD
	v_lshlrev_b32_e32 v34, 3, v126
	ds_write_b64 v2, v[120:121]
	ds_write_b64 v2, v[42:43] offset:3840
	v_add_u32_e32 v114, 0x100, v95
	v_add_u32_e32 v115, 0x2700, v95
	v_add3_u32 v116, 0, v22, v34
	v_lshl_add_u32 v117, v128, 3, 0
	v_lshl_add_u32 v120, v131, 3, 0
	v_fma_f64 v[147:148], v[227:228], 2.0, -v[80:81]
	ds_write2st64_b64 v114, v[149:150], v[153:154] offset0:15 offset1:17
	ds_write2_b64 v115, v[157:158], v[44:45] offset1:224
	ds_write2st64_b64 v95, v[46:47], v[48:49] offset0:25 offset1:27
	ds_write_b64 v116, v[16:17]
	ds_write_b64 v116, v[50:51] offset:3840
	ds_write_b64 v117, v[14:15] offset:15360
	;; [unrolled: 1-line block ×5, first 2 shown]
	v_lshl_add_u32 v64, v134, 3, 0
	v_mul_u32_u24_sdwa v12, v23, s5 dst_sel:DWORD dst_unused:UNUSED_PAD src0_sel:BYTE_3 src1_sel:DWORD
	v_lshlrev_b32_e32 v13, 3, v136
	ds_write_b64 v64, v[18:19] offset:15360
	ds_write_b64 v64, v[66:67] offset:19200
	v_add3_u32 v18, 0, v12, v13
	v_lshl_add_u32 v19, v237, 3, 0
	v_lshl_add_u32 v65, v238, 3, 0
	v_lshl_add_u32 v66, v239, 3, 0
	s_movk_i32 s5, 0x3000
	v_fma_f64 v[151:152], v[225:226], 2.0, -v[82:83]
	v_fma_f64 v[155:156], v[215:216], 2.0, -v[98:99]
	;; [unrolled: 1-line block ×11, first 2 shown]
	ds_write_b64 v18, v[10:11]
	ds_write_b64 v18, v[68:69] offset:3840
	ds_write_b64 v19, v[8:9] offset:23040
	;; [unrolled: 1-line block ×7, first 2 shown]
	s_waitcnt lgkmcnt(0)
	s_barrier
	ds_read2st64_b64 v[8:11], v86 offset1:30
	ds_read2st64_b64 v[12:15], v86 offset0:32 offset1:34
	ds_read_b64 v[16:17], v91
	ds_read_b64 v[22:23], v92
	ds_read2st64_b64 v[25:28], v86 offset0:36 offset1:38
	ds_read_b64 v[195:196], v87
	ds_read2st64_b64 v[34:37], v86 offset0:40 offset1:42
	ds_read2st64_b64 v[38:41], v86 offset0:44 offset1:46
	ds_read_b64 v[197:198], v93
	ds_read_b64 v[199:200], v94
	ds_read_b64 v[201:202], v60
	ds_read_b64 v[203:204], v61
	ds_read2st64_b64 v[42:45], v86 offset0:48 offset1:50
	ds_read_b64 v[205:206], v89
	ds_read_b64 v[207:208], v88
	;; [unrolled: 1-line block ×3, first 2 shown]
	ds_read2st64_b64 v[46:49], v86 offset0:52 offset1:54
	ds_read2st64_b64 v[50:53], v86 offset0:56 offset1:58
	ds_read_b64 v[211:212], v20
	ds_read_b64 v[213:214], v21
	;; [unrolled: 1-line block ×4, first 2 shown]
	s_waitcnt lgkmcnt(0)
	s_barrier
	ds_write_b64 v86, v[112:113]
	ds_write_b64 v86, v[96:97] offset:3840
	ds_write_b64 v91, v[56:57]
	ds_write_b64 v91, v[76:77] offset:3840
	;; [unrolled: 2-line block ×4, first 2 shown]
	ds_write2st64_b64 v114, v[151:152], v[155:156] offset0:15 offset1:17
	ds_write2_b64 v115, v[159:160], v[82:83] offset1:224
	ds_write2st64_b64 v95, v[98:99], v[100:101] offset0:25 offset1:27
	ds_write_b64 v116, v[161:162]
	ds_write_b64 v116, v[102:103] offset:3840
	ds_write_b64 v117, v[163:164] offset:15360
	;; [unrolled: 1-line block ×7, first 2 shown]
	ds_write_b64 v18, v[74:75]
	ds_write_b64 v18, v[110:111] offset:3840
	ds_write_b64 v19, v[171:172] offset:23040
	;; [unrolled: 1-line block ×7, first 2 shown]
	v_add_co_u32_e64 v29, s[0:1], s5, v54
	v_addc_co_u32_e64 v30, s[0:1], 0, v55, s[0:1]
	v_add_co_u32_e64 v18, s[0:1], s5, v58
	v_addc_co_u32_e64 v19, s[0:1], 0, v59, s[0:1]
	v_add_co_u32_e64 v56, s[0:1], s5, v62
	s_waitcnt lgkmcnt(0)
	s_barrier
	global_load_dwordx4 v[64:67], v[29:30], off offset:2912
	v_addc_co_u32_e64 v57, s[0:1], 0, v63, s[0:1]
	global_load_dwordx4 v[68:71], v[18:19], off offset:2912
	global_load_dwordx4 v[72:75], v[56:57], off offset:2912
	v_lshlrev_b64 v[18:19], 4, v[140:141]
	v_lshlrev_b64 v[100:101], 4, v[137:138]
	v_add_co_u32_e64 v96, s[0:1], s8, v18
	v_addc_co_u32_e64 v97, s[0:1], v24, v19, s[0:1]
	v_add_co_u32_e64 v56, s[0:1], s5, v96
	v_lshlrev_b64 v[18:19], 4, v[143:144]
	v_addc_co_u32_e64 v57, s[0:1], 0, v97, s[0:1]
	v_add_co_u32_e64 v18, s[0:1], s8, v18
	v_addc_co_u32_e64 v19, s[0:1], v24, v19, s[0:1]
	v_add_co_u32_e64 v80, s[0:1], s5, v18
	v_addc_co_u32_e64 v81, s[0:1], 0, v19, s[0:1]
	global_load_dwordx4 v[76:79], v[56:57], off offset:2912
	s_nop 0
	global_load_dwordx4 v[80:83], v[80:81], off offset:2912
	v_lshlrev_b64 v[56:57], 4, v[145:146]
	v_add_u32_e32 v2, 0xfffffc40, v127
	v_add_co_u32_e64 v98, s[0:1], s8, v56
	v_addc_co_u32_e64 v99, s[0:1], v24, v57, s[0:1]
	v_add_co_u32_e64 v56, s[0:1], s5, v98
	v_addc_co_u32_e64 v57, s[0:1], 0, v99, s[0:1]
	;; [unrolled: 2-line block ×4, first 2 shown]
	v_cmp_gt_u32_e64 s[0:1], s4, v127
	v_cndmask_b32_e64 v2, v2, v127, s[0:1]
	global_load_dwordx4 v[102:105], v[56:57], off offset:2912
	s_nop 0
	global_load_dwordx4 v[106:109], v[106:107], off offset:2912
	v_lshlrev_b64 v[56:57], 4, v[2:3]
	global_load_dwordx4 v[110:113], v[29:30], off offset:3936
	v_add_co_u32_e64 v56, s[0:1], s8, v56
	v_addc_co_u32_e64 v57, s[0:1], v24, v57, s[0:1]
	v_add_co_u32_e64 v56, s[0:1], s5, v56
	v_addc_co_u32_e64 v57, s[0:1], 0, v57, s[0:1]
	s_movk_i32 s0, 0x4000
	v_add_co_u32_e64 v29, s[0:1], s0, v54
	v_addc_co_u32_e64 v30, s[0:1], 0, v55, s[0:1]
	global_load_dwordx4 v[114:117], v[56:57], off offset:2912
	global_load_dwordx4 v[118:121], v[29:30], off offset:1888
	v_add_u32_e32 v29, 0x1400, v31
	v_add_co_u32_e64 v29, s[0:1], s8, v29
	v_addc_co_u32_e64 v30, s[0:1], 0, v24, s[0:1]
	v_add_co_u32_e64 v29, s[0:1], s5, v29
	v_addc_co_u32_e64 v30, s[0:1], 0, v30, s[0:1]
	v_add_u32_e32 v56, 0x1c00, v31
	v_add_co_u32_e64 v56, s[0:1], s8, v56
	v_addc_co_u32_e64 v57, s[0:1], 0, v24, s[0:1]
	v_add_co_u32_e64 v56, s[0:1], s5, v56
	v_addc_co_u32_e64 v57, s[0:1], 0, v57, s[0:1]
	global_load_dwordx4 v[143:146], v[29:30], off offset:2912
	global_load_dwordx4 v[147:150], v[56:57], off offset:2912
	v_add_u32_e32 v29, 0x2400, v31
	v_add_co_u32_e64 v29, s[0:1], s8, v29
	v_addc_co_u32_e64 v30, s[0:1], 0, v24, s[0:1]
	v_add_co_u32_e64 v29, s[0:1], s5, v29
	v_addc_co_u32_e64 v30, s[0:1], 0, v30, s[0:1]
	global_load_dwordx4 v[151:154], v[29:30], off offset:2912
	v_add_u32_e32 v29, 0x2c00, v31
	v_add_co_u32_e64 v29, s[0:1], s8, v29
	v_addc_co_u32_e64 v30, s[0:1], 0, v24, s[0:1]
	v_add_co_u32_e64 v29, s[0:1], s5, v29
	v_addc_co_u32_e64 v30, s[0:1], 0, v30, s[0:1]
	global_load_dwordx4 v[155:158], v[29:30], off offset:2912
	v_add_u32_e32 v29, 0x3400, v31
	v_add_co_u32_e64 v29, s[0:1], s8, v29
	v_addc_co_u32_e64 v24, s[0:1], 0, v24, s[0:1]
	v_add_co_u32_e64 v29, s[0:1], s5, v29
	v_addc_co_u32_e64 v30, s[0:1], 0, v24, s[0:1]
	global_load_dwordx4 v[159:162], v[29:30], off offset:2912
	ds_read2st64_b64 v[163:166], v86 offset1:30
	ds_read2st64_b64 v[167:170], v86 offset0:32 offset1:34
	ds_read_b64 v[29:30], v91
	ds_read_b64 v[56:57], v92
	ds_read2st64_b64 v[171:174], v86 offset0:36 offset1:38
	ds_read_b64 v[136:137], v87
	ds_read2st64_b64 v[175:178], v86 offset0:40 offset1:42
	ds_read2st64_b64 v[179:182], v86 offset0:44 offset1:46
	ds_read_b64 v[140:141], v93
	ds_read_b64 v[215:216], v94
	ds_read_b64 v[217:218], v60
	ds_read_b64 v[219:220], v61
	ds_read2st64_b64 v[183:186], v86 offset0:48 offset1:50
	ds_read_b64 v[221:222], v89
	ds_read_b64 v[223:224], v88
	;; [unrolled: 1-line block ×3, first 2 shown]
	ds_read2st64_b64 v[187:190], v86 offset0:52 offset1:54
	ds_read2st64_b64 v[191:194], v86 offset0:56 offset1:58
	s_waitcnt vmcnt(14) lgkmcnt(14)
	v_mul_f64 v[227:228], v[165:166], v[66:67]
	v_mul_f64 v[66:67], v[10:11], v[66:67]
	s_waitcnt vmcnt(13)
	v_mul_f64 v[229:230], v[167:168], v[70:71]
	v_mul_f64 v[70:71], v[12:13], v[70:71]
	ds_read_b64 v[231:232], v20
	ds_read_b64 v[233:234], v21
	;; [unrolled: 1-line block ×4, first 2 shown]
	s_movk_i32 s0, 0x3bf
	s_waitcnt vmcnt(0) lgkmcnt(0)
	s_barrier
	v_fma_f64 v[10:11], v[10:11], v[64:65], -v[227:228]
	v_fma_f64 v[64:65], v[165:166], v[64:65], v[66:67]
	v_fma_f64 v[12:13], v[12:13], v[68:69], -v[229:230]
	v_fma_f64 v[66:67], v[167:168], v[68:69], v[70:71]
	v_mul_f64 v[68:69], v[169:170], v[74:75]
	v_mul_f64 v[70:71], v[14:15], v[74:75]
	;; [unrolled: 1-line block ×8, first 2 shown]
	v_fma_f64 v[14:15], v[14:15], v[72:73], -v[68:69]
	v_fma_f64 v[68:69], v[169:170], v[72:73], v[70:71]
	v_fma_f64 v[24:25], v[25:26], v[76:77], -v[74:75]
	v_fma_f64 v[26:27], v[27:28], v[80:81], -v[165:166]
	v_fma_f64 v[72:73], v[173:174], v[80:81], v[82:83]
	v_fma_f64 v[34:35], v[34:35], v[102:103], -v[167:168]
	v_fma_f64 v[74:75], v[175:176], v[102:103], v[104:105]
	v_mul_f64 v[102:103], v[181:182], v[112:113]
	v_mul_f64 v[80:81], v[179:180], v[116:117]
	v_mul_f64 v[104:105], v[40:41], v[112:113]
	v_fma_f64 v[70:71], v[171:172], v[76:77], v[78:79]
	v_mul_f64 v[76:77], v[177:178], v[108:109]
	v_mul_f64 v[78:79], v[36:37], v[108:109]
	;; [unrolled: 1-line block ×5, first 2 shown]
	v_fma_f64 v[38:39], v[38:39], v[114:115], -v[80:81]
	v_fma_f64 v[40:41], v[40:41], v[110:111], -v[102:103]
	v_fma_f64 v[80:81], v[181:182], v[110:111], v[104:105]
	v_fma_f64 v[36:37], v[36:37], v[106:107], -v[76:77]
	v_fma_f64 v[76:77], v[177:178], v[106:107], v[78:79]
	v_fma_f64 v[78:79], v[179:180], v[114:115], v[82:83]
	v_fma_f64 v[42:43], v[42:43], v[118:119], -v[108:109]
	v_fma_f64 v[82:83], v[183:184], v[118:119], v[112:113]
	v_add_f64 v[10:11], v[8:9], -v[10:11]
	v_add_f64 v[12:13], v[16:17], -v[12:13]
	;; [unrolled: 1-line block ×3, first 2 shown]
	v_mul_f64 v[102:103], v[185:186], v[145:146]
	v_mul_f64 v[104:105], v[44:45], v[145:146]
	;; [unrolled: 1-line block ×4, first 2 shown]
	v_add_f64 v[24:25], v[207:208], -v[24:25]
	v_add_f64 v[38:39], v[199:200], -v[38:39]
	;; [unrolled: 1-line block ×4, first 2 shown]
	v_fma_f64 v[44:45], v[44:45], v[143:144], -v[102:103]
	v_fma_f64 v[102:103], v[185:186], v[143:144], v[104:105]
	v_fma_f64 v[46:47], v[46:47], v[147:148], -v[106:107]
	v_mul_f64 v[110:111], v[189:190], v[153:154]
	v_mul_f64 v[112:113], v[48:49], v[153:154]
	v_fma_f64 v[104:105], v[187:188], v[147:148], v[108:109]
	v_add_f64 v[42:43], v[203:204], -v[42:43]
	v_add_f64 v[118:119], v[56:57], -v[68:69]
	;; [unrolled: 1-line block ×3, first 2 shown]
	v_fma_f64 v[8:9], v[8:9], 2.0, -v[10:11]
	v_add_f64 v[46:47], v[211:212], -v[46:47]
	v_fma_f64 v[48:49], v[48:49], v[151:152], -v[110:111]
	v_fma_f64 v[106:107], v[189:190], v[151:152], v[112:113]
	v_mul_f64 v[116:117], v[50:51], v[157:158]
	v_mul_f64 v[114:115], v[191:192], v[157:158]
	v_fma_f64 v[16:17], v[16:17], 2.0, -v[12:13]
	v_fma_f64 v[22:23], v[22:23], 2.0, -v[14:15]
	;; [unrolled: 1-line block ×3, first 2 shown]
	v_add_f64 v[143:144], v[223:224], -v[70:71]
	v_add_f64 v[48:49], v[213:214], -v[48:49]
	;; [unrolled: 1-line block ×3, first 2 shown]
	v_fma_f64 v[108:109], v[191:192], v[155:156], v[116:117]
	v_add_f64 v[116:117], v[29:30], -v[66:67]
	v_mul_f64 v[110:111], v[193:194], v[161:162]
	v_mul_f64 v[112:113], v[52:53], v[161:162]
	v_fma_f64 v[50:51], v[50:51], v[155:156], -v[114:115]
	v_add_f64 v[114:115], v[163:164], -v[64:65]
	v_fma_f64 v[70:71], v[201:202], 2.0, -v[40:41]
	v_fma_f64 v[72:73], v[203:204], 2.0, -v[42:43]
	;; [unrolled: 1-line block ×3, first 2 shown]
	v_add_f64 v[147:148], v[136:137], -v[74:75]
	v_fma_f64 v[52:53], v[52:53], v[159:160], -v[110:111]
	v_fma_f64 v[64:65], v[193:194], v[159:160], v[112:113]
	v_fma_f64 v[112:113], v[29:30], 2.0, -v[116:117]
	v_add_f64 v[28:29], v[195:196], -v[34:35]
	v_add_f64 v[30:31], v[197:198], -v[36:37]
	;; [unrolled: 1-line block ×3, first 2 shown]
	v_fma_f64 v[34:35], v[207:208], 2.0, -v[24:25]
	v_fma_f64 v[36:37], v[205:206], 2.0, -v[26:27]
	v_add_f64 v[52:53], v[4:5], -v[52:53]
	v_fma_f64 v[74:75], v[209:210], 2.0, -v[44:45]
	v_add_f64 v[169:170], v[237:238], -v[64:65]
	v_fma_f64 v[56:57], v[195:196], 2.0, -v[28:29]
	v_fma_f64 v[66:67], v[197:198], 2.0, -v[30:31]
	;; [unrolled: 1-line block ×3, first 2 shown]
	v_add_f64 v[149:150], v[140:141], -v[76:77]
	v_fma_f64 v[76:77], v[213:214], 2.0, -v[48:49]
	v_fma_f64 v[6:7], v[6:7], 2.0, -v[50:51]
	ds_write2st64_b64 v86, v[8:9], v[10:11] offset1:15
	ds_write2st64_b64 v91, v[16:17], v[12:13] offset1:15
	ds_write2st64_b64 v92, v[22:23], v[14:15] offset1:15
	ds_write2st64_b64 v88, v[34:35], v[24:25] offset1:15
	ds_write2st64_b64 v89, v[36:37], v[26:27] offset1:15
	ds_write2st64_b64 v87, v[56:57], v[28:29] offset1:15
	ds_write2st64_b64 v93, v[66:67], v[30:31] offset1:15
	v_mov_b32_e32 v8, 0x3c00
	v_cmp_lt_u32_e64 s[0:1], s0, v127
	v_fma_f64 v[4:5], v[4:5], 2.0, -v[52:53]
	v_cndmask_b32_e64 v8, 0, v8, s[0:1]
	v_lshlrev_b32_e32 v2, 3, v2
	v_add3_u32 v2, 0, v8, v2
	v_add_f64 v[155:156], v[215:216], -v[78:79]
	v_add_f64 v[157:158], v[217:218], -v[80:81]
	;; [unrolled: 1-line block ×3, first 2 shown]
	ds_write2st64_b64 v2, v[68:69], v[38:39] offset1:15
	ds_write2st64_b64 v95, v[70:71], v[72:73] offset0:31 offset1:33
	ds_write2st64_b64 v95, v[42:43], v[44:45] offset0:48 offset1:50
	;; [unrolled: 1-line block ×7, first 2 shown]
	s_waitcnt lgkmcnt(0)
	s_barrier
	ds_read2st64_b64 v[26:29], v86 offset1:30
	ds_read2st64_b64 v[34:37], v86 offset0:32 offset1:34
	ds_read_b64 v[64:65], v91
	ds_read_b64 v[66:67], v92
	ds_read2st64_b64 v[38:41], v86 offset0:36 offset1:38
	ds_read_b64 v[70:71], v87
	ds_read2st64_b64 v[42:45], v86 offset0:40 offset1:42
	ds_read2st64_b64 v[46:49], v86 offset0:44 offset1:46
	ds_read_b64 v[74:75], v93
	ds_read_b64 v[76:77], v94
	;; [unrolled: 1-line block ×4, first 2 shown]
	ds_read2st64_b64 v[50:53], v86 offset0:48 offset1:50
	ds_read_b64 v[72:73], v89
	ds_read_b64 v[68:69], v88
	;; [unrolled: 1-line block ×3, first 2 shown]
	ds_read2st64_b64 v[22:25], v86 offset0:52 offset1:54
	ds_read2st64_b64 v[6:9], v86 offset0:56 offset1:58
	ds_read_b64 v[56:57], v20
	ds_read_b64 v[30:31], v21
	;; [unrolled: 1-line block ×4, first 2 shown]
	v_fma_f64 v[110:111], v[163:164], 2.0, -v[114:115]
	v_add_f64 v[102:103], v[225:226], -v[102:103]
	v_add_f64 v[104:105], v[231:232], -v[104:105]
	;; [unrolled: 1-line block ×4, first 2 shown]
	v_fma_f64 v[151:152], v[223:224], 2.0, -v[143:144]
	v_fma_f64 v[153:154], v[221:222], 2.0, -v[145:146]
	;; [unrolled: 1-line block ×12, first 2 shown]
	s_waitcnt lgkmcnt(0)
	s_barrier
	ds_write2st64_b64 v86, v[110:111], v[114:115] offset1:15
	ds_write2st64_b64 v91, v[112:113], v[116:117] offset1:15
	;; [unrolled: 1-line block ×8, first 2 shown]
	ds_write2st64_b64 v95, v[163:164], v[165:166] offset0:31 offset1:33
	ds_write2st64_b64 v95, v[159:160], v[102:103] offset0:48 offset1:50
	;; [unrolled: 1-line block ×7, first 2 shown]
	s_waitcnt lgkmcnt(0)
	s_barrier
	s_and_saveexec_b64 s[0:1], vcc
	s_cbranch_execz .LBB0_15
; %bb.14:
	v_mov_b32_e32 v143, v3
	v_lshlrev_b64 v[4:5], 4, v[142:143]
	v_mov_b32_e32 v92, s9
	v_add_co_u32_e32 v2, vcc, s8, v4
	v_addc_co_u32_e32 v5, vcc, v92, v5, vcc
	v_add_co_u32_e32 v4, vcc, 0x7000, v2
	v_addc_co_u32_e32 v5, vcc, 0, v5, vcc
	v_mov_b32_e32 v134, v3
	global_load_dwordx4 v[102:105], v[4:5], off offset:1888
	v_lshlrev_b64 v[4:5], 4, v[133:134]
	s_movk_i32 s0, 0x7000
	v_add_co_u32_e32 v2, vcc, s8, v4
	v_addc_co_u32_e32 v5, vcc, v92, v5, vcc
	v_add_co_u32_e32 v4, vcc, s0, v2
	v_addc_co_u32_e32 v5, vcc, 0, v5, vcc
	global_load_dwordx4 v[106:109], v[4:5], off offset:1888
	v_mov_b32_e32 v126, v3
	v_lshlrev_b64 v[4:5], 4, v[125:126]
	v_mov_b32_e32 v140, v3
	v_add_co_u32_e32 v2, vcc, s8, v4
	v_addc_co_u32_e32 v5, vcc, v92, v5, vcc
	v_add_co_u32_e32 v4, vcc, s0, v2
	v_addc_co_u32_e32 v5, vcc, 0, v5, vcc
	global_load_dwordx4 v[110:113], v[4:5], off offset:1888
	v_lshlrev_b64 v[4:5], 4, v[139:140]
	v_mul_i32_i24_e32 v91, 0xffffffb8, v130
	v_add_co_u32_e32 v2, vcc, s8, v4
	v_addc_co_u32_e32 v5, vcc, v92, v5, vcc
	v_add_co_u32_e32 v4, vcc, s0, v2
	v_addc_co_u32_e32 v5, vcc, 0, v5, vcc
	global_load_dwordx4 v[114:117], v[4:5], off offset:1888
	v_mov_b32_e32 v130, v3
	v_mov_b32_e32 v125, v3
	v_mov_b32_e32 v133, v3
	v_mov_b32_e32 v128, v3
	v_lshlrev_b64 v[2:3], 4, v[129:130]
	v_mul_i32_i24_e32 v161, 0xffffffb8, v135
	v_add_co_u32_e32 v2, vcc, s8, v2
	v_addc_co_u32_e32 v3, vcc, v92, v3, vcc
	v_add_co_u32_e32 v2, vcc, s0, v2
	v_addc_co_u32_e32 v3, vcc, 0, v3, vcc
	ds_read2st64_b64 v[118:121], v86 offset0:56 offset1:58
	ds_read_b64 v[16:17], v33
	ds_read_b64 v[32:33], v32
	;; [unrolled: 1-line block ×3, first 2 shown]
	ds_read2st64_b64 v[134:137], v86 offset0:52 offset1:54
	v_lshlrev_b64 v[12:13], 4, v[132:133]
	global_load_dwordx4 v[129:132], v[2:3], off offset:1888
	v_lshlrev_b64 v[4:5], 4, v[124:125]
	v_lshlrev_b64 v[2:3], 4, v[127:128]
	v_add_co_u32_e32 v4, vcc, s8, v4
	v_addc_co_u32_e32 v5, vcc, v92, v5, vcc
	v_add_co_u32_e32 v4, vcc, s0, v4
	v_addc_co_u32_e32 v5, vcc, 0, v5, vcc
	global_load_dwordx4 v[124:127], v[4:5], off offset:1888
	v_add_co_u32_e32 v21, vcc, s8, v12
	v_addc_co_u32_e32 v95, vcc, v92, v13, vcc
	v_add_co_u32_e32 v128, vcc, s8, v2
	v_addc_co_u32_e32 v92, vcc, v92, v3, vcc
	ds_read_b64 v[149:150], v20
	v_add_u32_e32 v85, v85, v161
	v_add_u32_e32 v84, v84, v91
	v_mul_lo_u32 v1, s2, v1
	v_or_b32_e32 v91, 0x800, v0
	s_waitcnt vmcnt(5) lgkmcnt(5)
	v_mul_f64 v[4:5], v[102:103], v[120:121]
	v_mul_f64 v[120:121], v[104:105], v[120:121]
	v_fma_f64 v[2:3], v[8:9], v[104:105], v[4:5]
	v_fma_f64 v[8:9], v[8:9], v[102:103], -v[120:121]
	v_add_co_u32_e32 v4, vcc, s0, v21
	s_waitcnt vmcnt(4)
	v_mul_f64 v[140:141], v[106:107], v[118:119]
	v_addc_co_u32_e32 v5, vcc, 0, v95, vcc
	global_load_dwordx4 v[102:105], v[4:5], off offset:1888
	v_fma_f64 v[12:13], v[6:7], v[108:109], v[140:141]
	v_mul_f64 v[108:109], v[108:109], v[118:119]
	v_add_co_u32_e32 v118, vcc, s0, v128
	v_addc_co_u32_e32 v119, vcc, 0, v92, vcc
	s_waitcnt lgkmcnt(3)
	v_add_f64 v[12:13], v[32:33], -v[12:13]
	v_fma_f64 v[140:141], v[6:7], v[106:107], -v[108:109]
	global_load_dwordx4 v[106:109], v[118:119], off offset:1888
	v_add_f64 v[4:5], v[16:17], -v[2:3]
	v_add_f64 v[2:3], v[10:11], -v[8:9]
	v_fma_f64 v[8:9], v[16:17], 2.0, -v[4:5]
	v_fma_f64 v[6:7], v[10:11], 2.0, -v[2:3]
	v_add_co_u32_e32 v10, vcc, s0, v100
	v_addc_co_u32_e32 v11, vcc, 0, v101, vcc
	global_load_dwordx4 v[118:121], v[10:11], off offset:1888
	v_fma_f64 v[16:17], v[32:33], 2.0, -v[12:13]
	s_waitcnt vmcnt(6) lgkmcnt(1)
	v_mul_f64 v[32:33], v[110:111], v[136:137]
	v_mul_f64 v[136:137], v[112:113], v[136:137]
	v_add_co_u32_e32 v98, vcc, s0, v98
	v_addc_co_u32_e32 v99, vcc, 0, v99, vcc
	global_load_dwordx4 v[98:101], v[98:99], off offset:1888
	v_add_co_u32_e32 v18, vcc, s0, v18
	v_fma_f64 v[32:33], v[24:25], v[112:113], v[32:33]
	v_fma_f64 v[24:25], v[24:25], v[110:111], -v[136:137]
	s_waitcnt vmcnt(6)
	v_mul_f64 v[136:137], v[114:115], v[134:135]
	v_mul_f64 v[133:134], v[116:117], v[134:135]
	v_addc_co_u32_e32 v19, vcc, 0, v19, vcc
	global_load_dwordx4 v[110:113], v[18:19], off offset:1888
	v_add_f64 v[10:11], v[14:15], -v[140:141]
	v_add_f64 v[20:21], v[138:139], -v[32:33]
	;; [unrolled: 1-line block ×3, first 2 shown]
	v_fma_f64 v[32:33], v[22:23], v[116:117], v[136:137]
	v_fma_f64 v[140:141], v[22:23], v[114:115], -v[133:134]
	ds_read2st64_b64 v[114:117], v86 offset0:48 offset1:50
	v_add_co_u32_e32 v22, vcc, s0, v96
	v_addc_co_u32_e32 v23, vcc, 0, v97, vcc
	global_load_dwordx4 v[133:136], v[22:23], off offset:1888
	s_waitcnt vmcnt(7) lgkmcnt(0)
	v_mul_f64 v[95:96], v[129:130], v[116:117]
	v_add_co_u32_e32 v62, vcc, s0, v62
	v_addc_co_u32_e32 v63, vcc, 0, v63, vcc
	v_add_co_u32_e32 v58, vcc, s0, v58
	v_addc_co_u32_e32 v59, vcc, 0, v59, vcc
	;; [unrolled: 2-line block ×3, first 2 shown]
	v_fma_f64 v[24:25], v[138:139], 2.0, -v[20:21]
	v_fma_f64 v[95:96], v[52:53], v[131:132], v[95:96]
	v_mul_f64 v[131:132], v[131:132], v[116:117]
	s_waitcnt vmcnt(6)
	v_mul_f64 v[151:152], v[124:125], v[114:115]
	v_mul_f64 v[153:154], v[126:127], v[114:115]
	global_load_dwordx4 v[114:117], v[54:55], off offset:1888
	v_fma_f64 v[22:23], v[30:31], 2.0, -v[18:19]
	v_add_f64 v[30:31], v[56:57], -v[140:141]
	global_load_dwordx4 v[137:140], v[62:63], off offset:1888
	global_load_dwordx4 v[141:144], v[58:59], off offset:1888
	ds_read_b64 v[62:63], v90
	ds_read2st64_b64 v[145:148], v86 offset0:44 offset1:46
	ds_read_b64 v[155:156], v89
	ds_read_b64 v[157:158], v88
	;; [unrolled: 1-line block ×3, first 2 shown]
	v_fma_f64 v[87:88], v[52:53], v[129:130], -v[131:132]
	s_waitcnt vmcnt(8) lgkmcnt(3)
	v_mul_f64 v[89:90], v[102:103], v[147:148]
	v_fma_f64 v[126:127], v[50:51], v[126:127], v[151:152]
	v_add_f64 v[58:59], v[62:63], -v[95:96]
	v_mul_f64 v[95:96], v[104:105], v[147:148]
	v_fma_f64 v[124:125], v[50:51], v[124:125], -v[153:154]
	ds_read_b64 v[128:129], v61
	v_fma_f64 v[52:53], v[56:57], 2.0, -v[30:31]
	v_add_f64 v[56:57], v[82:83], -v[87:88]
	v_fma_f64 v[104:105], v[48:49], v[104:105], v[89:90]
	v_add_f64 v[32:33], v[149:150], -v[32:33]
	v_fma_f64 v[50:51], v[62:63], 2.0, -v[58:59]
	v_fma_f64 v[48:49], v[48:49], v[102:103], -v[95:96]
	ds_read_b64 v[102:103], v60
	ds_read2st64_b64 v[87:90], v86 offset0:40 offset1:42
	ds_read_b64 v[130:131], v94
	s_waitcnt lgkmcnt(3)
	v_add_f64 v[62:63], v[128:129], -v[126:127]
	v_add_f64 v[60:61], v[80:81], -v[124:125]
	s_waitcnt vmcnt(7)
	v_mul_f64 v[124:125], v[106:107], v[145:146]
	v_mul_f64 v[126:127], v[108:109], v[145:146]
	s_waitcnt lgkmcnt(2)
	v_add_f64 v[96:97], v[102:103], -v[104:105]
	v_add_f64 v[94:95], v[78:79], -v[48:49]
	ds_read_b64 v[92:93], v93
	v_fma_f64 v[48:49], v[82:83], 2.0, -v[56:57]
	v_fma_f64 v[82:83], v[128:129], 2.0, -v[62:63]
	;; [unrolled: 1-line block ×3, first 2 shown]
	v_fma_f64 v[124:125], v[46:47], v[108:109], v[124:125]
	s_waitcnt vmcnt(6) lgkmcnt(2)
	v_mul_f64 v[145:146], v[118:119], v[89:90]
	v_fma_f64 v[46:47], v[46:47], v[106:107], -v[126:127]
	v_fma_f64 v[104:105], v[102:103], 2.0, -v[96:97]
	v_fma_f64 v[102:103], v[78:79], 2.0, -v[94:95]
	ds_read2st64_b64 v[106:109], v86 offset0:36 offset1:38
	v_mul_f64 v[89:90], v[120:121], v[89:90]
	v_fma_f64 v[54:55], v[149:150], 2.0, -v[32:33]
	s_waitcnt lgkmcnt(2)
	v_add_f64 v[126:127], v[130:131], -v[124:125]
	v_fma_f64 v[78:79], v[44:45], v[120:121], v[145:146]
	s_waitcnt vmcnt(5)
	v_mul_f64 v[120:121], v[98:99], v[87:88]
	v_mul_f64 v[87:88], v[100:101], v[87:88]
	v_add_f64 v[124:125], v[76:77], -v[46:47]
	v_fma_f64 v[14:15], v[14:15], 2.0, -v[10:11]
	v_fma_f64 v[44:45], v[44:45], v[118:119], -v[89:90]
	s_waitcnt lgkmcnt(1)
	v_add_f64 v[46:47], v[92:93], -v[78:79]
	s_waitcnt vmcnt(4) lgkmcnt(0)
	v_mul_f64 v[128:129], v[110:111], v[108:109]
	v_mul_f64 v[108:109], v[112:113], v[108:109]
	v_fma_f64 v[87:88], v[42:43], v[98:99], -v[87:88]
	v_fma_f64 v[89:90], v[42:43], v[100:101], v[120:121]
	v_fma_f64 v[78:79], v[130:131], 2.0, -v[126:127]
	v_add_f64 v[44:45], v[74:75], -v[44:45]
	v_fma_f64 v[76:77], v[76:77], 2.0, -v[124:125]
	v_fma_f64 v[42:43], v[92:93], 2.0, -v[46:47]
	v_fma_f64 v[98:99], v[40:41], v[112:113], v[128:129]
	v_fma_f64 v[40:41], v[40:41], v[110:111], -v[108:109]
	v_add_f64 v[87:88], v[70:71], -v[87:88]
	s_waitcnt vmcnt(3)
	v_mul_f64 v[92:93], v[133:134], v[106:107]
	v_mul_f64 v[110:111], v[135:136], v[106:107]
	ds_read2st64_b64 v[106:109], v86 offset0:32 offset1:34
	v_add_f64 v[89:90], v[159:160], -v[89:90]
	v_add_f64 v[100:101], v[155:156], -v[98:99]
	;; [unrolled: 1-line block ×3, first 2 shown]
	v_fma_f64 v[40:41], v[74:75], 2.0, -v[44:45]
	v_fma_f64 v[92:93], v[38:39], v[135:136], v[92:93]
	v_fma_f64 v[38:39], v[38:39], v[133:134], -v[110:111]
	v_fma_f64 v[110:111], v[70:71], 2.0, -v[87:88]
	ds_read_b64 v[134:135], v84
	v_or_b32_e32 v84, 0x780, v0
	v_fma_f64 v[74:75], v[155:156], 2.0, -v[100:101]
	v_fma_f64 v[72:73], v[72:73], 2.0, -v[98:99]
	;; [unrolled: 1-line block ×3, first 2 shown]
	v_add_f64 v[120:121], v[157:158], -v[92:93]
	v_add_f64 v[118:119], v[68:69], -v[38:39]
	s_waitcnt vmcnt(1) lgkmcnt(1)
	v_mul_f64 v[128:129], v[137:138], v[108:109]
	v_mul_f64 v[70:71], v[139:140], v[108:109]
	s_waitcnt vmcnt(0)
	v_mul_f64 v[92:93], v[141:142], v[106:107]
	v_fma_f64 v[38:39], v[36:37], v[139:140], v[128:129]
	ds_read2st64_b64 v[128:131], v86 offset1:30
	v_fma_f64 v[36:37], v[36:37], v[137:138], -v[70:71]
	v_mul_f64 v[70:71], v[143:144], v[106:107]
	v_fma_f64 v[92:93], v[34:35], v[143:144], v[92:93]
	ds_read_b64 v[85:86], v85
	s_waitcnt lgkmcnt(1)
	v_mul_f64 v[106:107], v[114:115], v[130:131]
	v_mul_f64 v[108:109], v[116:117], v[130:131]
	v_add_f64 v[36:37], v[66:67], -v[36:37]
	v_fma_f64 v[34:35], v[34:35], v[141:142], -v[70:71]
	v_add_f64 v[70:71], v[134:135], -v[92:93]
	s_waitcnt lgkmcnt(0)
	v_add_f64 v[38:39], v[85:86], -v[38:39]
	v_fma_f64 v[130:131], v[28:29], v[116:117], v[106:107]
	v_fma_f64 v[28:29], v[28:29], v[114:115], -v[108:109]
	v_fma_f64 v[106:107], v[68:69], 2.0, -v[118:119]
	v_fma_f64 v[108:109], v[157:158], 2.0, -v[120:121]
	;; [unrolled: 1-line block ×3, first 2 shown]
	v_add_f64 v[68:69], v[64:65], -v[34:35]
	v_mul_lo_u32 v34, s3, v0
	v_fma_f64 v[66:67], v[134:135], 2.0, -v[70:71]
	v_add_f64 v[132:133], v[128:129], -v[130:131]
	v_add_f64 v[130:131], v[26:27], -v[28:29]
	v_mad_u64_u32 v[28:29], s[0:1], s2, v0, 0
	v_fma_f64 v[116:117], v[85:86], 2.0, -v[38:39]
	v_fma_f64 v[64:65], v[64:65], 2.0, -v[68:69]
	v_add3_u32 v29, v29, v1, v34
	v_mad_u64_u32 v[34:35], s[0:1], s2, v84, 0
	v_fma_f64 v[136:137], v[128:129], 2.0, -v[132:133]
	v_fma_f64 v[134:135], v[26:27], 2.0, -v[130:131]
	v_lshlrev_b64 v[27:28], 4, v[28:29]
	v_mov_b32_e32 v29, v35
	v_mad_u64_u32 v[84:85], s[0:1], s3, v84, v[29:30]
	v_mov_b32_e32 v26, s13
	v_add_co_u32_e32 v1, vcc, s12, v122
	v_addc_co_u32_e32 v26, vcc, v26, v123, vcc
	v_add_co_u32_e32 v27, vcc, v1, v27
	v_addc_co_u32_e32 v28, vcc, v26, v28, vcc
	v_mov_b32_e32 v35, v84
	v_or_b32_e32 v84, 0x80, v0
	global_store_dwordx4 v[27:28], v[134:137], off
	v_lshlrev_b64 v[27:28], 4, v[34:35]
	v_mad_u64_u32 v[34:35], s[0:1], s2, v84, 0
	v_add_co_u32_e32 v27, vcc, v1, v27
	v_mov_b32_e32 v29, v35
	v_mad_u64_u32 v[84:85], s[0:1], s3, v84, v[29:30]
	v_mad_u64_u32 v[85:86], s[0:1], s2, v91, 0
	v_addc_co_u32_e32 v28, vcc, v26, v28, vcc
	v_mov_b32_e32 v35, v84
	global_store_dwordx4 v[27:28], v[130:133], off
	v_lshlrev_b64 v[27:28], 4, v[34:35]
	v_mov_b32_e32 v29, v86
	v_mad_u64_u32 v[34:35], s[0:1], s3, v91, v[29:30]
	v_add_co_u32_e32 v27, vcc, v1, v27
	v_addc_co_u32_e32 v28, vcc, v26, v28, vcc
	global_store_dwordx4 v[27:28], v[64:67], off
	v_mov_b32_e32 v86, v34
	v_or_b32_e32 v64, 0x100, v0
	v_mad_u64_u32 v[34:35], s[0:1], s2, v64, 0
	v_or_b32_e32 v67, 0x880, v0
	v_lshlrev_b64 v[27:28], 4, v[85:86]
	v_mov_b32_e32 v29, v35
	v_mad_u64_u32 v[64:65], s[0:1], s3, v64, v[29:30]
	v_mad_u64_u32 v[65:66], s[0:1], s2, v67, 0
	v_add_co_u32_e32 v27, vcc, v1, v27
	v_addc_co_u32_e32 v28, vcc, v26, v28, vcc
	v_mov_b32_e32 v35, v64
	v_mov_b32_e32 v29, v66
	global_store_dwordx4 v[27:28], v[68:71], off
	v_lshlrev_b64 v[27:28], 4, v[34:35]
	v_mad_u64_u32 v[34:35], s[0:1], s3, v67, v[29:30]
	v_or_b32_e32 v64, 0x180, v0
	v_add_co_u32_e32 v27, vcc, v1, v27
	v_mov_b32_e32 v66, v34
	v_mad_u64_u32 v[34:35], s[0:1], s2, v64, 0
	v_addc_co_u32_e32 v28, vcc, v26, v28, vcc
	v_mov_b32_e32 v29, v35
	global_store_dwordx4 v[27:28], v[114:117], off
	v_lshlrev_b64 v[27:28], 4, v[65:66]
	v_mad_u64_u32 v[64:65], s[0:1], s3, v64, v[29:30]
	v_or_b32_e32 v67, 0x900, v0
	v_mad_u64_u32 v[65:66], s[0:1], s2, v67, 0
	v_add_co_u32_e32 v27, vcc, v1, v27
	v_addc_co_u32_e32 v28, vcc, v26, v28, vcc
	v_mov_b32_e32 v35, v64
	v_mov_b32_e32 v29, v66
	global_store_dwordx4 v[27:28], v[36:39], off
	v_lshlrev_b64 v[27:28], 4, v[34:35]
	v_mad_u64_u32 v[34:35], s[0:1], s3, v67, v[29:30]
	v_or_b32_e32 v36, 0x200, v0
	v_add_co_u32_e32 v27, vcc, v1, v27
	v_mov_b32_e32 v66, v34
	v_mad_u64_u32 v[34:35], s[0:1], s2, v36, 0
	v_or_b32_e32 v38, 0x980, v0
	v_addc_co_u32_e32 v28, vcc, v26, v28, vcc
	v_mov_b32_e32 v29, v35
	v_mad_u64_u32 v[35:36], s[0:1], s3, v36, v[29:30]
	v_mad_u64_u32 v[36:37], s[0:1], s2, v38, 0
	global_store_dwordx4 v[27:28], v[106:109], off
	v_lshlrev_b64 v[27:28], 4, v[65:66]
	v_mov_b32_e32 v29, v37
	v_add_co_u32_e32 v27, vcc, v1, v27
	v_addc_co_u32_e32 v28, vcc, v26, v28, vcc
	global_store_dwordx4 v[27:28], v[118:121], off
	v_lshlrev_b64 v[27:28], 4, v[34:35]
	v_mad_u64_u32 v[34:35], s[0:1], s3, v38, v[29:30]
	v_add_co_u32_e32 v27, vcc, v1, v27
	v_addc_co_u32_e32 v28, vcc, v26, v28, vcc
	v_mov_b32_e32 v37, v34
	global_store_dwordx4 v[27:28], v[72:75], off
	v_lshlrev_b64 v[27:28], 4, v[36:37]
	v_or_b32_e32 v36, 0x280, v0
	v_mad_u64_u32 v[34:35], s[0:1], s2, v36, 0
	v_or_b32_e32 v38, 0xa00, v0
	v_add_co_u32_e32 v27, vcc, v1, v27
	v_mov_b32_e32 v29, v35
	v_mad_u64_u32 v[35:36], s[0:1], s3, v36, v[29:30]
	v_mad_u64_u32 v[36:37], s[0:1], s2, v38, 0
	v_addc_co_u32_e32 v28, vcc, v26, v28, vcc
	v_mov_b32_e32 v29, v37
	global_store_dwordx4 v[27:28], v[98:101], off
	v_lshlrev_b64 v[27:28], 4, v[34:35]
	v_mad_u64_u32 v[34:35], s[0:1], s3, v38, v[29:30]
	v_add_co_u32_e32 v27, vcc, v1, v27
	v_addc_co_u32_e32 v28, vcc, v26, v28, vcc
	v_mov_b32_e32 v37, v34
	global_store_dwordx4 v[27:28], v[110:113], off
	v_lshlrev_b64 v[27:28], 4, v[36:37]
	v_or_b32_e32 v36, 0x300, v0
	v_mad_u64_u32 v[34:35], s[0:1], s2, v36, 0
	v_or_b32_e32 v38, 0xa80, v0
	v_add_co_u32_e32 v27, vcc, v1, v27
	v_mov_b32_e32 v29, v35
	v_mad_u64_u32 v[35:36], s[0:1], s3, v36, v[29:30]
	v_mad_u64_u32 v[36:37], s[0:1], s2, v38, 0
	v_addc_co_u32_e32 v28, vcc, v26, v28, vcc
	v_mov_b32_e32 v29, v37
	;; [unrolled: 17-line block ×7, first 2 shown]
	global_store_dwordx4 v[27:28], v[56:59], off
	v_lshlrev_b64 v[27:28], 4, v[34:35]
	v_mad_u64_u32 v[34:35], s[0:1], s3, v38, v[29:30]
	v_add_co_u32_e32 v27, vcc, v1, v27
	v_addc_co_u32_e32 v28, vcc, v26, v28, vcc
	v_mov_b32_e32 v37, v34
	global_store_dwordx4 v[27:28], v[52:55], off
	v_lshlrev_b64 v[27:28], 4, v[36:37]
	v_or_b32_e32 v36, 0x600, v0
	v_mad_u64_u32 v[34:35], s[0:1], s2, v36, 0
	v_add_co_u32_e32 v27, vcc, v1, v27
	v_mov_b32_e32 v29, v35
	v_mad_u64_u32 v[35:36], s[0:1], s3, v36, v[29:30]
	v_addc_co_u32_e32 v28, vcc, v26, v28, vcc
	v_or_b32_e32 v38, 0xd80, v0
	v_mad_u64_u32 v[36:37], s[0:1], s2, v38, 0
	global_store_dwordx4 v[27:28], v[30:33], off
	v_lshlrev_b64 v[27:28], 4, v[34:35]
	v_mov_b32_e32 v29, v37
	v_add_co_u32_e32 v27, vcc, v1, v27
	v_addc_co_u32_e32 v28, vcc, v26, v28, vcc
	global_store_dwordx4 v[27:28], v[22:25], off
	v_or_b32_e32 v27, 0x680, v0
	v_mad_u64_u32 v[29:30], s[0:1], s3, v38, v[29:30]
	v_mad_u64_u32 v[24:25], s[0:1], s2, v27, 0
	v_mov_b32_e32 v37, v29
	v_lshlrev_b64 v[22:23], 4, v[36:37]
	v_mad_u64_u32 v[27:28], s[0:1], s3, v27, v[25:26]
	v_add_co_u32_e32 v22, vcc, v1, v22
	v_addc_co_u32_e32 v23, vcc, v26, v23, vcc
	v_or_b32_e32 v30, 0xe00, v0
	v_mov_b32_e32 v25, v27
	v_mad_u64_u32 v[28:29], s[0:1], s2, v30, 0
	global_store_dwordx4 v[22:23], v[18:21], off
	s_nop 0
	v_lshlrev_b64 v[18:19], 4, v[24:25]
	v_mov_b32_e32 v20, v29
	v_add_co_u32_e32 v18, vcc, v1, v18
	v_addc_co_u32_e32 v19, vcc, v26, v19, vcc
	global_store_dwordx4 v[18:19], v[14:17], off
	v_or_b32_e32 v18, 0x700, v0
	v_mad_u64_u32 v[20:21], s[0:1], s3, v30, v[20:21]
	v_mad_u64_u32 v[16:17], s[0:1], s2, v18, 0
	v_mov_b32_e32 v29, v20
	v_or_b32_e32 v20, 0xe80, v0
	v_mad_u64_u32 v[17:18], s[0:1], s3, v18, v[17:18]
	v_mad_u64_u32 v[18:19], s[0:1], s2, v20, 0
	v_lshlrev_b64 v[14:15], 4, v[28:29]
	v_add_co_u32_e32 v14, vcc, v1, v14
	v_addc_co_u32_e32 v15, vcc, v26, v15, vcc
	v_mov_b32_e32 v0, v19
	global_store_dwordx4 v[14:15], v[10:13], off
	s_nop 0
	v_mad_u64_u32 v[12:13], s[0:1], s3, v20, v[0:1]
	v_lshlrev_b64 v[10:11], 4, v[16:17]
	v_add_co_u32_e32 v10, vcc, v1, v10
	v_addc_co_u32_e32 v11, vcc, v26, v11, vcc
	v_mov_b32_e32 v19, v12
	global_store_dwordx4 v[10:11], v[6:9], off
	s_nop 0
	v_lshlrev_b64 v[6:7], 4, v[18:19]
	v_add_co_u32_e32 v0, vcc, v1, v6
	v_addc_co_u32_e32 v1, vcc, v26, v7, vcc
	global_store_dwordx4 v[0:1], v[2:5], off
.LBB0_15:
	s_endpgm
	.section	.rodata,"a",@progbits
	.p2align	6, 0x0
	.amdhsa_kernel fft_rtc_fwd_len3840_factors_10_6_2_2_2_2_2_2_wgs_128_tpt_128_halfLds_dp_ip_CI_sbrr_dirReg
		.amdhsa_group_segment_fixed_size 0
		.amdhsa_private_segment_fixed_size 0
		.amdhsa_kernarg_size 88
		.amdhsa_user_sgpr_count 6
		.amdhsa_user_sgpr_private_segment_buffer 1
		.amdhsa_user_sgpr_dispatch_ptr 0
		.amdhsa_user_sgpr_queue_ptr 0
		.amdhsa_user_sgpr_kernarg_segment_ptr 1
		.amdhsa_user_sgpr_dispatch_id 0
		.amdhsa_user_sgpr_flat_scratch_init 0
		.amdhsa_user_sgpr_private_segment_size 0
		.amdhsa_uses_dynamic_stack 0
		.amdhsa_system_sgpr_private_segment_wavefront_offset 0
		.amdhsa_system_sgpr_workgroup_id_x 1
		.amdhsa_system_sgpr_workgroup_id_y 0
		.amdhsa_system_sgpr_workgroup_id_z 0
		.amdhsa_system_sgpr_workgroup_info 0
		.amdhsa_system_vgpr_workitem_id 0
		.amdhsa_next_free_vgpr 242
		.amdhsa_next_free_sgpr 24
		.amdhsa_reserve_vcc 1
		.amdhsa_reserve_flat_scratch 0
		.amdhsa_float_round_mode_32 0
		.amdhsa_float_round_mode_16_64 0
		.amdhsa_float_denorm_mode_32 3
		.amdhsa_float_denorm_mode_16_64 3
		.amdhsa_dx10_clamp 1
		.amdhsa_ieee_mode 1
		.amdhsa_fp16_overflow 0
		.amdhsa_exception_fp_ieee_invalid_op 0
		.amdhsa_exception_fp_denorm_src 0
		.amdhsa_exception_fp_ieee_div_zero 0
		.amdhsa_exception_fp_ieee_overflow 0
		.amdhsa_exception_fp_ieee_underflow 0
		.amdhsa_exception_fp_ieee_inexact 0
		.amdhsa_exception_int_div_zero 0
	.end_amdhsa_kernel
	.text
.Lfunc_end0:
	.size	fft_rtc_fwd_len3840_factors_10_6_2_2_2_2_2_2_wgs_128_tpt_128_halfLds_dp_ip_CI_sbrr_dirReg, .Lfunc_end0-fft_rtc_fwd_len3840_factors_10_6_2_2_2_2_2_2_wgs_128_tpt_128_halfLds_dp_ip_CI_sbrr_dirReg
                                        ; -- End function
	.section	.AMDGPU.csdata,"",@progbits
; Kernel info:
; codeLenInByte = 26832
; NumSgprs: 28
; NumVgprs: 242
; ScratchSize: 0
; MemoryBound: 1
; FloatMode: 240
; IeeeMode: 1
; LDSByteSize: 0 bytes/workgroup (compile time only)
; SGPRBlocks: 3
; VGPRBlocks: 60
; NumSGPRsForWavesPerEU: 28
; NumVGPRsForWavesPerEU: 242
; Occupancy: 1
; WaveLimiterHint : 1
; COMPUTE_PGM_RSRC2:SCRATCH_EN: 0
; COMPUTE_PGM_RSRC2:USER_SGPR: 6
; COMPUTE_PGM_RSRC2:TRAP_HANDLER: 0
; COMPUTE_PGM_RSRC2:TGID_X_EN: 1
; COMPUTE_PGM_RSRC2:TGID_Y_EN: 0
; COMPUTE_PGM_RSRC2:TGID_Z_EN: 0
; COMPUTE_PGM_RSRC2:TIDIG_COMP_CNT: 0
	.type	__hip_cuid_d3b087195debe781,@object ; @__hip_cuid_d3b087195debe781
	.section	.bss,"aw",@nobits
	.globl	__hip_cuid_d3b087195debe781
__hip_cuid_d3b087195debe781:
	.byte	0                               ; 0x0
	.size	__hip_cuid_d3b087195debe781, 1

	.ident	"AMD clang version 19.0.0git (https://github.com/RadeonOpenCompute/llvm-project roc-6.4.0 25133 c7fe45cf4b819c5991fe208aaa96edf142730f1d)"
	.section	".note.GNU-stack","",@progbits
	.addrsig
	.addrsig_sym __hip_cuid_d3b087195debe781
	.amdgpu_metadata
---
amdhsa.kernels:
  - .args:
      - .actual_access:  read_only
        .address_space:  global
        .offset:         0
        .size:           8
        .value_kind:     global_buffer
      - .offset:         8
        .size:           8
        .value_kind:     by_value
      - .actual_access:  read_only
        .address_space:  global
        .offset:         16
        .size:           8
        .value_kind:     global_buffer
      - .actual_access:  read_only
        .address_space:  global
        .offset:         24
        .size:           8
        .value_kind:     global_buffer
      - .offset:         32
        .size:           8
        .value_kind:     by_value
      - .actual_access:  read_only
        .address_space:  global
        .offset:         40
        .size:           8
        .value_kind:     global_buffer
      - .actual_access:  read_only
        .address_space:  global
        .offset:         48
        .size:           8
        .value_kind:     global_buffer
      - .offset:         56
        .size:           4
        .value_kind:     by_value
      - .actual_access:  read_only
        .address_space:  global
        .offset:         64
        .size:           8
        .value_kind:     global_buffer
      - .actual_access:  read_only
        .address_space:  global
        .offset:         72
        .size:           8
        .value_kind:     global_buffer
      - .address_space:  global
        .offset:         80
        .size:           8
        .value_kind:     global_buffer
    .group_segment_fixed_size: 0
    .kernarg_segment_align: 8
    .kernarg_segment_size: 88
    .language:       OpenCL C
    .language_version:
      - 2
      - 0
    .max_flat_workgroup_size: 128
    .name:           fft_rtc_fwd_len3840_factors_10_6_2_2_2_2_2_2_wgs_128_tpt_128_halfLds_dp_ip_CI_sbrr_dirReg
    .private_segment_fixed_size: 0
    .sgpr_count:     28
    .sgpr_spill_count: 0
    .symbol:         fft_rtc_fwd_len3840_factors_10_6_2_2_2_2_2_2_wgs_128_tpt_128_halfLds_dp_ip_CI_sbrr_dirReg.kd
    .uniform_work_group_size: 1
    .uses_dynamic_stack: false
    .vgpr_count:     242
    .vgpr_spill_count: 0
    .wavefront_size: 64
amdhsa.target:   amdgcn-amd-amdhsa--gfx906
amdhsa.version:
  - 1
  - 2
...

	.end_amdgpu_metadata
